;; amdgpu-corpus repo=ROCm/rocFFT kind=compiled arch=gfx1201 opt=O3
	.text
	.amdgcn_target "amdgcn-amd-amdhsa--gfx1201"
	.amdhsa_code_object_version 6
	.protected	bluestein_single_back_len756_dim1_sp_op_CI_CI ; -- Begin function bluestein_single_back_len756_dim1_sp_op_CI_CI
	.globl	bluestein_single_back_len756_dim1_sp_op_CI_CI
	.p2align	8
	.type	bluestein_single_back_len756_dim1_sp_op_CI_CI,@function
bluestein_single_back_len756_dim1_sp_op_CI_CI: ; @bluestein_single_back_len756_dim1_sp_op_CI_CI
; %bb.0:
	s_load_b128 s[12:15], s[0:1], 0x28
	v_mul_u32_u24_e32 v1, 0x411, v0
	s_mov_b32 s2, exec_lo
	v_mov_b32_e32 v99, 0
	s_delay_alu instid0(VALU_DEP_2) | instskip(NEXT) | instid1(VALU_DEP_1)
	v_lshrrev_b32_e32 v1, 16, v1
	v_add_nc_u32_e32 v98, ttmp9, v1
	s_wait_kmcnt 0x0
	s_delay_alu instid0(VALU_DEP_1)
	v_cmpx_gt_u64_e64 s[12:13], v[98:99]
	s_cbranch_execz .LBB0_10
; %bb.1:
	s_clause 0x1
	s_load_b128 s[4:7], s[0:1], 0x18
	s_load_b128 s[8:11], s[0:1], 0x0
	v_mul_lo_u16 v1, v1, 63
	s_movk_i32 s2, 0xf628
	s_mov_b32 s3, -1
                                        ; implicit-def: $vgpr131
	s_delay_alu instid0(VALU_DEP_1) | instskip(NEXT) | instid1(VALU_DEP_1)
	v_sub_nc_u16 v48, v0, v1
	v_and_b32_e32 v135, 0xffff, v48
	s_wait_kmcnt 0x0
	s_load_b128 s[16:19], s[4:5], 0x0
	s_wait_kmcnt 0x0
	v_mad_co_u64_u32 v[0:1], null, s18, v98, 0
	v_mad_co_u64_u32 v[2:3], null, s16, v135, 0
	s_mul_u64 s[4:5], s[16:17], 0xbd0
	s_mul_u64 s[2:3], s[16:17], s[2:3]
	s_delay_alu instid0(VALU_DEP_1) | instskip(NEXT) | instid1(VALU_DEP_1)
	v_mad_co_u64_u32 v[4:5], null, s19, v98, v[1:2]
	v_dual_mov_b32 v1, v4 :: v_dual_lshlrev_b32 v136, 3, v135
	s_delay_alu instid0(VALU_DEP_3)
	v_mad_co_u64_u32 v[5:6], null, s17, v135, v[3:4]
	s_clause 0x5
	global_load_b64 v[101:102], v136, s[8:9] offset:3024
	global_load_b64 v[99:100], v136, s[8:9] offset:3528
	global_load_b64 v[115:116], v136, s[8:9]
	global_load_b64 v[105:106], v136, s[8:9] offset:504
	global_load_b64 v[109:110], v136, s[8:9] offset:1008
	;; [unrolled: 1-line block ×3, first 2 shown]
	v_lshlrev_b64_e32 v[0:1], 3, v[0:1]
	s_clause 0x3
	global_load_b64 v[103:104], v136, s[8:9] offset:2016
	global_load_b64 v[111:112], v136, s[8:9] offset:4032
	;; [unrolled: 1-line block ×4, first 2 shown]
	v_mov_b32_e32 v3, v5
	v_add_co_u32 v0, vcc_lo, s14, v0
	v_add_co_ci_u32_e32 v1, vcc_lo, s15, v1, vcc_lo
	s_delay_alu instid0(VALU_DEP_3) | instskip(NEXT) | instid1(VALU_DEP_1)
	v_lshlrev_b64_e32 v[2:3], 3, v[2:3]
	v_add_co_u32 v0, vcc_lo, v0, v2
	s_wait_alu 0xfffd
	s_delay_alu instid0(VALU_DEP_2) | instskip(NEXT) | instid1(VALU_DEP_2)
	v_add_co_ci_u32_e32 v1, vcc_lo, v1, v3, vcc_lo
	v_add_co_u32 v2, vcc_lo, v0, s4
	s_wait_alu 0xfffd
	s_delay_alu instid0(VALU_DEP_2) | instskip(SKIP_4) | instid1(VALU_DEP_2)
	v_add_co_ci_u32_e32 v3, vcc_lo, s5, v1, vcc_lo
	global_load_b64 v[0:1], v[0:1], off
	v_add_co_u32 v4, vcc_lo, v2, s2
	s_wait_alu 0xfffd
	v_add_co_ci_u32_e32 v5, vcc_lo, s3, v3, vcc_lo
	v_add_co_u32 v6, vcc_lo, v4, s4
	s_wait_alu 0xfffd
	s_delay_alu instid0(VALU_DEP_2) | instskip(NEXT) | instid1(VALU_DEP_2)
	v_add_co_ci_u32_e32 v7, vcc_lo, s5, v5, vcc_lo
	v_add_co_u32 v8, vcc_lo, v6, s2
	s_wait_alu 0xfffd
	s_delay_alu instid0(VALU_DEP_2)
	v_add_co_ci_u32_e32 v9, vcc_lo, s3, v7, vcc_lo
	s_clause 0x2
	global_load_b64 v[2:3], v[2:3], off
	global_load_b64 v[4:5], v[4:5], off
	;; [unrolled: 1-line block ×3, first 2 shown]
	v_add_co_u32 v10, vcc_lo, v8, s4
	s_wait_alu 0xfffd
	v_add_co_ci_u32_e32 v11, vcc_lo, s5, v9, vcc_lo
	global_load_b64 v[8:9], v[8:9], off
	v_add_co_u32 v12, vcc_lo, v10, s2
	s_wait_alu 0xfffd
	v_add_co_ci_u32_e32 v13, vcc_lo, s3, v11, vcc_lo
	global_load_b64 v[10:11], v[10:11], off
	v_add_co_u32 v14, vcc_lo, v12, s4
	s_wait_alu 0xfffd
	v_add_co_ci_u32_e32 v15, vcc_lo, s5, v13, vcc_lo
	global_load_b64 v[12:13], v[12:13], off
	v_add_co_u32 v16, vcc_lo, v14, s2
	s_wait_alu 0xfffd
	v_add_co_ci_u32_e32 v17, vcc_lo, s3, v15, vcc_lo
	global_load_b64 v[14:15], v[14:15], off
	v_add_co_u32 v18, vcc_lo, v16, s4
	s_wait_alu 0xfffd
	v_add_co_ci_u32_e32 v19, vcc_lo, s5, v17, vcc_lo
	global_load_b64 v[16:17], v[16:17], off
	v_add_co_u32 v20, vcc_lo, v18, s2
	s_wait_alu 0xfffd
	v_add_co_ci_u32_e32 v21, vcc_lo, s3, v19, vcc_lo
	global_load_b64 v[18:19], v[18:19], off
	v_add_co_u32 v22, vcc_lo, v20, s4
	s_wait_alu 0xfffd
	v_add_co_ci_u32_e32 v23, vcc_lo, s5, v21, vcc_lo
	global_load_b64 v[119:120], v136, s[8:9] offset:2520
	global_load_b64 v[20:21], v[20:21], off
	global_load_b64 v[121:122], v136, s[8:9] offset:5544
	global_load_b64 v[22:23], v[22:23], off
	v_add_nc_u32_e32 v50, 0x800, v136
	v_add_nc_u32_e32 v51, 0x1000, v136
	;; [unrolled: 1-line block ×4, first 2 shown]
	s_load_b128 s[4:7], s[6:7], 0x0
	v_cmp_gt_u16_e32 vcc_lo, 36, v48
	s_wait_loadcnt 0xd
	v_mul_f32_e32 v24, v1, v116
	v_mul_f32_e32 v25, v0, v116
	s_delay_alu instid0(VALU_DEP_2)
	v_fmac_f32_e32 v24, v0, v115
	v_add_co_u32 v49, null, v135, 63
	v_lshlrev_b32_e32 v30, 1, v135
	v_add_co_u32 v33, null, 0xbd, v135
	v_add_co_u32 v32, null, 0x7e, v135
	s_wait_loadcnt 0xc
	v_mul_f32_e32 v0, v3, v102
	v_mul_f32_e32 v27, v2, v102
	s_wait_loadcnt 0xb
	v_mul_f32_e32 v26, v5, v106
	v_mul_f32_e32 v28, v4, v106
	v_lshlrev_b32_e32 v140, 4, v32
	v_fmac_f32_e32 v0, v2, v101
	v_fma_f32 v25, v1, v115, -v25
	v_fma_f32 v1, v3, v101, -v27
	s_wait_loadcnt 0xa
	v_mul_f32_e32 v2, v7, v100
	v_dual_mul_f32 v3, v6, v100 :: v_dual_fmac_f32 v26, v4, v105
	v_fma_f32 v27, v5, v105, -v28
	s_wait_loadcnt 0x8
	v_mul_f32_e32 v5, v10, v112
	ds_store_b64 v136, v[0:1] offset:3024
	v_mul_f32_e32 v1, v8, v110
	v_mul_f32_e32 v0, v9, v110
	v_dual_mul_f32 v4, v11, v112 :: v_dual_add_nc_u32 v159, 0x13b, v135
	v_fmac_f32_e32 v2, v6, v99
	v_fma_f32 v3, v7, v99, -v3
	s_wait_loadcnt 0x7
	v_mul_f32_e32 v6, v13, v118
	v_fma_f32 v1, v9, v109, -v1
	v_mul_f32_e32 v7, v12, v118
	s_wait_loadcnt 0x6
	v_dual_mul_f32 v9, v14, v108 :: v_dual_fmac_f32 v0, v8, v109
	v_dual_mul_f32 v8, v15, v108 :: v_dual_and_b32 v31, 1, v135
	v_dual_fmac_f32 v4, v10, v111 :: v_dual_lshlrev_b32 v141, 4, v49
	v_fma_f32 v5, v11, v111, -v5
	s_wait_loadcnt 0x5
	v_dual_mul_f32 v10, v17, v104 :: v_dual_lshlrev_b32 v39, 3, v30
	v_mul_f32_e32 v11, v16, v104
	v_fma_f32 v7, v13, v117, -v7
	v_fma_f32 v9, v15, v107, -v9
	s_wait_loadcnt 0x4
	v_mul_f32_e32 v13, v18, v114
	s_wait_loadcnt 0x2
	v_mul_f32_e32 v15, v20, v120
	v_dual_fmac_f32 v6, v12, v117 :: v_dual_lshlrev_b32 v137, 4, v135
	v_mul_f32_e32 v12, v19, v114
	v_dual_fmac_f32 v8, v14, v107 :: v_dual_and_b32 v41, 1, v33
	v_mul_f32_e32 v14, v21, v120
	v_fmac_f32_e32 v10, v16, v103
	v_fma_f32 v11, v17, v103, -v11
	s_wait_loadcnt 0x0
	v_mul_f32_e32 v16, v23, v122
	v_mul_f32_e32 v17, v22, v122
	v_fmac_f32_e32 v12, v18, v113
	v_fma_f32 v13, v19, v113, -v13
	v_fmac_f32_e32 v14, v20, v119
	v_fma_f32 v15, v21, v119, -v15
	v_fmac_f32_e32 v16, v22, v121
	v_fma_f32 v17, v23, v121, -v17
	ds_store_2addr_b64 v136, v[24:25], v[26:27] offset1:63
	ds_store_2addr_b64 v50, v[2:3], v[4:5] offset0:185 offset1:248
	ds_store_2addr_b64 v136, v[0:1], v[6:7] offset0:126 offset1:189
	;; [unrolled: 1-line block ×4, first 2 shown]
	ds_store_b64 v136, v[16:17] offset:5544
	global_wb scope:SCOPE_SE
	s_wait_dscnt 0x0
	s_wait_kmcnt 0x0
	s_barrier_signal -1
	s_barrier_wait -1
	global_inv scope:SCOPE_SE
	ds_load_2addr_b64 v[0:3], v136 offset1:63
	ds_load_2addr_b64 v[4:7], v50 offset0:122 offset1:185
	ds_load_2addr_b64 v[8:11], v136 offset0:126 offset1:189
	ds_load_2addr_b64 v[12:15], v150 offset0:120 offset1:183
	ds_load_2addr_b64 v[16:19], v149 offset0:124 offset1:187
	ds_load_2addr_b64 v[20:23], v51 offset0:118 offset1:181
	v_lshlrev_b32_e32 v40, 3, v31
	v_lshlrev_b32_e32 v142, 4, v33
	global_wb scope:SCOPE_SE
	s_wait_dscnt 0x0
	s_barrier_signal -1
	s_barrier_wait -1
	global_inv scope:SCOPE_SE
	v_dual_sub_f32 v24, v0, v4 :: v_dual_and_b32 v45, 0xff, v33
	v_dual_sub_f32 v25, v1, v5 :: v_dual_sub_f32 v4, v2, v6
	v_dual_sub_f32 v5, v3, v7 :: v_dual_sub_f32 v28, v8, v12
	;; [unrolled: 1-line block ×5, first 2 shown]
	v_sub_f32_e32 v21, v19, v23
	v_fma_f32 v22, v0, 2.0, -v24
	v_fma_f32 v23, v1, 2.0, -v25
	;; [unrolled: 1-line block ×12, first 2 shown]
	ds_store_b128 v137, v[22:25]
	ds_store_b128 v141, v[2:5]
	;; [unrolled: 1-line block ×4, first 2 shown]
	ds_store_b128 v39, v[34:37] offset:4032
	ds_store_b128 v137, v[18:21] offset:5040
	global_wb scope:SCOPE_SE
	s_wait_dscnt 0x0
	s_barrier_signal -1
	s_barrier_wait -1
	global_inv scope:SCOPE_SE
	global_load_b64 v[123:124], v40, s[10:11]
	v_and_b32_e32 v38, 1, v159
	v_lshlrev_b32_e32 v0, 3, v41
	v_and_b32_e32 v1, 1, v49
	v_lshlrev_b32_e32 v4, 1, v32
	v_lshlrev_b32_e32 v5, 1, v33
	;; [unrolled: 1-line block ×3, first 2 shown]
	v_and_or_b32 v2, 0x7c, v30, v31
	v_lshlrev_b32_e32 v8, 1, v159
	v_and_or_b32 v12, 0x1fc, v4, v31
	v_and_or_b32 v13, 0x1fc, v5, v41
	s_clause 0x1
	global_load_b64 v[125:126], v42, s[10:11]
	global_load_b64 v[127:128], v0, s[10:11]
	v_lshlrev_b32_e32 v0, 3, v1
	s_clause 0x1
	global_load_b32 v139, v42, s[10:11] offset:4
	global_load_b32 v138, v0, s[10:11]
	ds_load_2addr_b64 v[4:7], v150 offset0:120 offset1:183
	v_lshlrev_b32_e32 v146, 3, v2
	v_lshlrev_b32_e32 v147, 3, v12
	;; [unrolled: 1-line block ×3, first 2 shown]
	v_and_b32_e32 v27, 3, v32
	s_wait_loadcnt_dscnt 0x400
	v_mul_f32_e32 v36, v4, v124
	v_mul_f32_e32 v35, v5, v124
	s_delay_alu instid0(VALU_DEP_2) | instskip(SKIP_1) | instid1(VALU_DEP_3)
	v_fmac_f32_e32 v36, v5, v123
	v_lshlrev_b32_e32 v0, 1, v49
	v_fma_f32 v4, v4, v123, -v35
	s_delay_alu instid0(VALU_DEP_2)
	v_and_or_b32 v9, 0xfc, v0, v1
	ds_load_2addr_b64 v[0:3], v50 offset0:122 offset1:185
	s_wait_loadcnt 0x2
	v_dual_mul_f32 v37, v7, v128 :: v_dual_lshlrev_b32 v148, 3, v9
	s_wait_dscnt 0x0
	v_mul_f32_e32 v29, v1, v124
	v_and_or_b32 v15, 0x2fc, v8, v38
	ds_load_2addr_b64 v[8:11], v51 offset0:118 offset1:181
	v_mul_f32_e32 v34, v2, v126
	v_mul_f32_e32 v38, v6, v128
	v_fma_f32 v6, v6, v127, -v37
	s_wait_loadcnt 0x0
	s_delay_alu instid0(VALU_DEP_3) | instskip(NEXT) | instid1(VALU_DEP_3)
	v_dual_fmac_f32 v34, v3, v138 :: v_dual_lshlrev_b32 v143, 3, v15
	v_fmac_f32_e32 v38, v7, v127
	s_wait_dscnt 0x0
	v_mul_f32_e32 v40, v8, v124
	v_mul_f32_e32 v39, v9, v124
	;; [unrolled: 1-line block ×4, first 2 shown]
	s_delay_alu instid0(VALU_DEP_4)
	v_fmac_f32_e32 v40, v9, v123
	v_add_nc_u32_e32 v164, 0x1f8, v30
	v_mul_f32_e32 v30, v0, v124
	v_fma_f32 v0, v0, v123, -v29
	v_fma_f32 v8, v8, v123, -v39
	;; [unrolled: 1-line block ×3, first 2 shown]
	v_and_or_b32 v14, 0x3fc, v164, v31
	v_dual_mul_f32 v31, v3, v126 :: v_dual_fmac_f32 v30, v1, v123
	v_fmac_f32_e32 v42, v11, v125
	s_delay_alu instid0(VALU_DEP_3)
	v_lshlrev_b32_e32 v144, 3, v14
	ds_load_2addr_b64 v[12:15], v136 offset1:63
	ds_load_2addr_b64 v[16:19], v136 offset0:126 offset1:189
	ds_load_2addr_b64 v[20:23], v149 offset0:124 offset1:187
	v_fma_f32 v2, v2, v138, -v31
	v_and_b32_e32 v24, 3, v135
	global_wb scope:SCOPE_SE
	s_wait_dscnt 0x0
	s_barrier_signal -1
	s_barrier_wait -1
	global_inv scope:SCOPE_SE
	v_dual_sub_f32 v3, v15, v34 :: v_dual_sub_f32 v0, v12, v0
	v_sub_f32_e32 v1, v13, v30
	v_sub_f32_e32 v2, v14, v2
	;; [unrolled: 1-line block ×3, first 2 shown]
	v_dual_sub_f32 v5, v17, v36 :: v_dual_sub_f32 v6, v18, v6
	v_dual_sub_f32 v7, v19, v38 :: v_dual_sub_f32 v8, v20, v8
	v_sub_f32_e32 v9, v21, v40
	v_dual_sub_f32 v10, v22, v10 :: v_dual_lshlrev_b32 v25, 4, v24
	v_sub_f32_e32 v11, v23, v42
	v_fma_f32 v12, v12, 2.0, -v0
	v_fma_f32 v13, v13, 2.0, -v1
	;; [unrolled: 1-line block ×12, first 2 shown]
	ds_store_2addr_b64 v146, v[12:13], v[0:1] offset1:2
	ds_store_2addr_b64 v148, v[14:15], v[2:3] offset1:2
	;; [unrolled: 1-line block ×6, first 2 shown]
	global_wb scope:SCOPE_SE
	s_wait_dscnt 0x0
	s_barrier_signal -1
	s_barrier_wait -1
	global_inv scope:SCOPE_SE
	global_load_b128 v[0:3], v25, s[10:11] offset:16
	v_and_b32_e32 v26, 3, v49
	v_and_b32_e32 v16, 3, v33
	v_lshlrev_b32_e32 v4, 4, v27
	v_and_b32_e32 v17, 0xff, v48
	v_and_b32_e32 v34, 0xff, v49
	v_lshlrev_b32_e32 v28, 4, v26
	v_lshlrev_b32_e32 v5, 4, v16
	v_lshrrev_b32_e32 v20, 2, v32
	v_mul_lo_u16 v17, 0xab, v17
	v_lshrrev_b32_e32 v18, 2, v135
	s_clause 0x2
	global_load_b128 v[12:15], v28, s[10:11] offset:16
	global_load_b128 v[8:11], v4, s[10:11] offset:16
	;; [unrolled: 1-line block ×3, first 2 shown]
	v_mul_u32_u24_e32 v20, 12, v20
	v_lshrrev_b16 v35, 11, v17
	v_mul_lo_u16 v17, 0xab, v34
	v_mul_u32_u24_e32 v18, 12, v18
	v_lshrrev_b32_e32 v19, 2, v49
	v_or_b32_e32 v25, v20, v27
	v_lshrrev_b32_e32 v21, 2, v33
	v_lshrrev_b16 v52, 11, v17
	v_or_b32_e32 v18, v18, v24
	v_mul_lo_u16 v24, 0xab, v45
	v_mul_u32_u24_e32 v19, 12, v19
	v_mul_u32_u24_e32 v21, 12, v21
	v_mul_lo_u16 v20, v52, 12
	v_lshlrev_b32_e32 v154, 3, v25
	v_lshrrev_b16 v54, 11, v24
	v_or_b32_e32 v17, v19, v26
	v_or_b32_e32 v26, v21, v16
	v_sub_nc_u16 v28, v49, v20
	v_mul_lo_u16 v22, v35, 12
	v_mul_lo_u16 v27, v54, 12
	v_lshlrev_b32_e32 v153, 3, v17
	v_lshlrev_b32_e32 v151, 3, v26
	v_and_b32_e32 v56, 0xff, v28
	ds_load_2addr_b64 v[28:31], v51 offset0:118 offset1:181
	v_sub_nc_u16 v37, v33, v27
	s_wait_loadcnt_dscnt 0x100
	v_mul_f32_e32 v70, v28, v11
	s_wait_loadcnt 0x0
	v_mul_f32_e32 v74, v30, v7
	v_mul_f32_e32 v69, v29, v11
	s_delay_alu instid0(VALU_DEP_3) | instskip(SKIP_1) | instid1(VALU_DEP_4)
	v_dual_mul_f32 v73, v31, v7 :: v_dual_fmac_f32 v70, v29, v10
	v_and_b32_e32 v44, 0xff, v32
	v_fmac_f32_e32 v74, v31, v6
	s_delay_alu instid0(VALU_DEP_2) | instskip(NEXT) | instid1(VALU_DEP_1)
	v_mul_lo_u16 v23, 0xab, v44
	v_lshrrev_b16 v53, 11, v23
	s_delay_alu instid0(VALU_DEP_1) | instskip(NEXT) | instid1(VALU_DEP_1)
	v_mul_lo_u16 v24, v53, 12
	v_sub_nc_u16 v36, v32, v24
	ds_load_2addr_b64 v[24:27], v50 offset0:122 offset1:185
	s_wait_dscnt 0x0
	v_dual_mul_f32 v68, v24, v9 :: v_dual_and_b32 v57, 0xff, v36
	v_mul_f32_e32 v72, v26, v5
	v_mul_f32_e32 v67, v25, v9
	s_delay_alu instid0(VALU_DEP_3)
	v_dual_mul_f32 v71, v27, v5 :: v_dual_fmac_f32 v68, v25, v8
	v_lshlrev_b32_e32 v152, 3, v18
	v_sub_nc_u16 v18, v48, v22
	ds_load_2addr_b64 v[20:23], v150 offset0:120 offset1:183
	v_and_b32_e32 v55, 0xff, v18
	ds_load_2addr_b64 v[16:19], v149 offset0:124 offset1:187
	s_wait_dscnt 0x1
	v_mul_f32_e32 v62, v20, v3
	v_mul_f32_e32 v61, v21, v3
	s_delay_alu instid0(VALU_DEP_2)
	v_dual_mul_f32 v65, v23, v15 :: v_dual_fmac_f32 v62, v21, v2
	v_and_b32_e32 v58, 0xff, v37
	ds_load_2addr_b64 v[36:39], v136 offset1:63
	ds_load_2addr_b64 v[40:43], v136 offset0:126 offset1:189
	v_fmac_f32_e32 v72, v27, v4
	v_lshlrev_b32_e32 v46, 4, v55
	v_fma_f32 v21, v28, v10, -v69
	s_wait_dscnt 0x2
	v_mul_f32_e32 v59, v17, v1
	v_dual_mul_f32 v63, v19, v13 :: v_dual_sub_f32 v76, v72, v74
	global_wb scope:SCOPE_SE
	s_wait_dscnt 0x0
	s_barrier_signal -1
	s_barrier_wait -1
	global_inv scope:SCOPE_SE
	v_dual_add_f32 v69, v41, v68 :: v_dual_mul_f32 v60, v16, v1
	v_dual_add_f32 v77, v43, v72 :: v_dual_mul_f32 v66, v22, v15
	v_add_f32_e32 v72, v72, v74
	v_fma_f32 v16, v16, v0, -v59
	s_delay_alu instid0(VALU_DEP_4) | instskip(SKIP_1) | instid1(VALU_DEP_4)
	v_fmac_f32_e32 v60, v17, v0
	v_fma_f32 v17, v18, v12, -v63
	v_dual_fmac_f32 v43, -0.5, v72 :: v_dual_fmac_f32 v66, v23, v14
	v_mul_f32_e32 v64, v18, v13
	v_fma_f32 v18, v20, v2, -v61
	v_fma_f32 v20, v24, v8, -v67
	v_add_f32_e32 v25, v37, v60
	s_delay_alu instid0(VALU_DEP_4)
	v_dual_sub_f32 v67, v68, v70 :: v_dual_fmac_f32 v64, v19, v12
	v_fma_f32 v19, v22, v14, -v65
	v_fma_f32 v22, v26, v4, -v71
	;; [unrolled: 1-line block ×3, first 2 shown]
	v_add_f32_e32 v68, v68, v70
	v_add_f32_e32 v23, v36, v16
	v_dual_add_f32 v27, v60, v62 :: v_dual_add_f32 v28, v38, v17
	v_add_f32_e32 v31, v17, v19
	v_sub_f32_e32 v63, v17, v19
	v_dual_sub_f32 v71, v20, v21 :: v_dual_sub_f32 v78, v22, v26
	v_add_f32_e32 v17, v25, v62
	v_fma_f32 v25, -0.5, v68, v41
	v_add_f32_e32 v24, v16, v18
	v_sub_f32_e32 v30, v16, v18
	v_add_f32_e32 v16, v23, v18
	v_fma_f32 v23, -0.5, v27, v37
	v_fmamk_f32 v37, v71, 0xbf5db3d7, v25
	v_fmac_f32_e32 v25, 0x3f5db3d7, v71
	v_fmamk_f32 v41, v78, 0xbf5db3d7, v43
	v_add_f32_e32 v61, v64, v66
	v_add_f32_e32 v65, v20, v21
	v_sub_f32_e32 v29, v60, v62
	v_add_f32_e32 v73, v42, v22
	v_add_f32_e32 v75, v22, v26
	v_fma_f32 v22, -0.5, v24, v36
	v_dual_sub_f32 v59, v64, v66 :: v_dual_add_f32 v60, v39, v64
	v_fma_f32 v38, -0.5, v31, v38
	v_dual_fmac_f32 v39, -0.5, v61 :: v_dual_add_f32 v64, v40, v20
	v_fma_f32 v24, -0.5, v65, v40
	v_add_f32_e32 v18, v28, v19
	v_fma_f32 v42, -0.5, v75, v42
	v_fmamk_f32 v28, v29, 0x3f5db3d7, v22
	v_dual_fmac_f32 v22, 0xbf5db3d7, v29 :: v_dual_fmamk_f32 v29, v30, 0xbf5db3d7, v23
	v_fmac_f32_e32 v23, 0x3f5db3d7, v30
	v_dual_add_f32 v19, v60, v66 :: v_dual_fmamk_f32 v30, v59, 0x3f5db3d7, v38
	v_dual_fmamk_f32 v31, v63, 0xbf5db3d7, v39 :: v_dual_fmac_f32 v38, 0xbf5db3d7, v59
	v_dual_fmac_f32 v39, 0x3f5db3d7, v63 :: v_dual_add_f32 v20, v64, v21
	v_dual_add_f32 v21, v69, v70 :: v_dual_fmamk_f32 v36, v67, 0x3f5db3d7, v24
	v_add_f32_e32 v26, v73, v26
	v_dual_add_f32 v27, v77, v74 :: v_dual_fmac_f32 v24, 0xbf5db3d7, v67
	v_fmamk_f32 v40, v76, 0x3f5db3d7, v42
	v_fmac_f32_e32 v42, 0xbf5db3d7, v76
	v_fmac_f32_e32 v43, 0x3f5db3d7, v78
	ds_store_2addr_b64 v152, v[16:17], v[28:29] offset1:4
	ds_store_b64 v152, v[22:23] offset:64
	ds_store_2addr_b64 v153, v[18:19], v[30:31] offset1:4
	ds_store_b64 v153, v[38:39] offset:64
	;; [unrolled: 2-line block ×4, first 2 shown]
	v_lshlrev_b32_e32 v16, 4, v57
	v_lshlrev_b32_e32 v47, 4, v56
	;; [unrolled: 1-line block ×3, first 2 shown]
	global_wb scope:SCOPE_SE
	s_wait_dscnt 0x0
	s_barrier_signal -1
	s_barrier_wait -1
	global_inv scope:SCOPE_SE
	s_clause 0x3
	global_load_b128 v[28:31], v46, s[10:11] offset:80
	global_load_b128 v[24:27], v47, s[10:11] offset:80
	global_load_b128 v[20:23], v16, s[10:11] offset:80
	global_load_b128 v[16:19], v17, s[10:11] offset:80
	v_add_co_u32 v36, s2, 0xffffffdc, v135
	s_wait_alu 0xf1ff
	v_add_co_ci_u32_e64 v37, null, 0, -1, s2
	v_mul_lo_u16 v38, v44, 57
	s_wait_alu 0xfffd
	v_cndmask_b32_e32 v64, v36, v135, vcc_lo
	v_mul_lo_u16 v36, v35, 36
	v_cndmask_b32_e64 v65, v37, 0, vcc_lo
	v_mul_lo_u16 v37, v34, 57
	v_mul_lo_u16 v39, v45, 57
	v_lshrrev_b16 v66, 11, v38
	s_load_b64 s[2:3], s[0:1], 0x38
	v_lshlrev_b64_e32 v[34:35], 4, v[64:65]
	v_lshrrev_b16 v65, 11, v37
	v_lshrrev_b16 v67, 11, v39
	v_mul_lo_u16 v39, v66, 36
	v_add_co_u32 v129, s0, s8, v136
	s_delay_alu instid0(VALU_DEP_4) | instskip(NEXT) | instid1(VALU_DEP_4)
	v_mul_lo_u16 v37, v65, 36
	v_mul_lo_u16 v40, v67, 36
	s_delay_alu instid0(VALU_DEP_4) | instskip(SKIP_1) | instid1(VALU_DEP_4)
	v_sub_nc_u16 v32, v32, v39
	v_add_co_u32 v46, vcc_lo, s10, v34
	v_sub_nc_u16 v42, v49, v37
	s_delay_alu instid0(VALU_DEP_4)
	v_sub_nc_u16 v33, v33, v40
	s_wait_alu 0xfffd
	v_add_co_ci_u32_e32 v47, vcc_lo, s11, v35, vcc_lo
	v_and_b32_e32 v35, 0xffff, v53
	v_and_b32_e32 v68, 0xff, v42
	ds_load_2addr_b64 v[42:45], v50 offset0:122 offset1:185
	v_and_b32_e32 v69, 0xff, v32
	v_cmp_lt_u16_e32 vcc_lo, 35, v48
	v_mul_u32_u24_e32 v53, 36, v35
	s_wait_alu 0xf1ff
	v_add_co_ci_u32_e64 v130, null, s9, 0, s0
	s_delay_alu instid0(VALU_DEP_2) | instskip(SKIP_4) | instid1(VALU_DEP_2)
	v_add_lshl_u32 v156, v53, v57, 3
	s_wait_loadcnt_dscnt 0x100
	v_mul_f32_e32 v79, v42, v21
	s_wait_loadcnt 0x0
	v_mul_f32_e32 v81, v44, v17
	v_dual_mul_f32 v80, v45, v17 :: v_dual_fmac_f32 v79, v43, v20
	s_delay_alu instid0(VALU_DEP_2) | instskip(SKIP_1) | instid1(VALU_DEP_2)
	v_dual_fmac_f32 v81, v45, v16 :: v_dual_and_b32 v38, 0xffff, v54
	v_and_b32_e32 v34, 0xffff, v52
	v_mul_u32_u24_e32 v54, 36, v38
	ds_load_2addr_b64 v[38:41], v150 offset0:120 offset1:183
	v_mul_u32_u24_e32 v52, 36, v34
	v_add_lshl_u32 v155, v54, v58, 3
	s_delay_alu instid0(VALU_DEP_2) | instskip(SKIP_3) | instid1(VALU_DEP_2)
	v_add_lshl_u32 v158, v52, v56, 3
	s_wait_dscnt 0x0
	v_mul_f32_e32 v77, v40, v27
	v_mul_f32_e32 v75, v38, v31
	v_dual_fmac_f32 v77, v41, v26 :: v_dual_and_b32 v36, 0xfc, v36
	s_delay_alu instid0(VALU_DEP_2) | instskip(NEXT) | instid1(VALU_DEP_2)
	v_fmac_f32_e32 v75, v39, v30
	v_add_lshl_u32 v157, v36, v55, 3
	ds_load_2addr_b64 v[34:37], v149 offset0:124 offset1:187
	ds_load_2addr_b64 v[52:55], v51 offset0:118 offset1:181
	ds_load_2addr_b64 v[56:59], v136 offset1:63
	ds_load_2addr_b64 v[60:63], v136 offset0:126 offset1:189
	v_and_b32_e32 v70, 0xff, v33
	global_wb scope:SCOPE_SE
	s_wait_dscnt 0x0
	s_wait_kmcnt 0x0
	s_barrier_signal -1
	s_barrier_wait -1
	global_inv scope:SCOPE_SE
	v_mul_f32_e32 v73, v36, v25
	v_mul_f32_e32 v83, v52, v23
	v_dual_mul_f32 v33, v34, v29 :: v_dual_mul_f32 v84, v55, v19
	v_mul_f32_e32 v85, v54, v19
	s_delay_alu instid0(VALU_DEP_4) | instskip(NEXT) | instid1(VALU_DEP_4)
	v_fmac_f32_e32 v73, v37, v24
	v_dual_fmac_f32 v83, v53, v22 :: v_dual_mul_f32 v78, v43, v21
	s_delay_alu instid0(VALU_DEP_4) | instskip(NEXT) | instid1(VALU_DEP_4)
	v_fmac_f32_e32 v33, v35, v28
	v_fmac_f32_e32 v85, v55, v18
	s_delay_alu instid0(VALU_DEP_4)
	v_add_f32_e32 v45, v59, v73
	v_dual_mul_f32 v74, v39, v31 :: v_dual_add_f32 v55, v73, v77
	v_mul_f32_e32 v72, v37, v25
	v_fma_f32 v37, v42, v20, -v78
	v_fma_f32 v42, v54, v18, -v84
	v_mul_f32_e32 v32, v35, v29
	v_fma_f32 v35, v38, v30, -v74
	v_fma_f32 v38, v44, v16, -v80
	v_add_f32_e32 v86, v63, v81
	v_mul_f32_e32 v76, v41, v27
	v_sub_f32_e32 v88, v81, v85
	v_add_f32_e32 v81, v81, v85
	v_add_f32_e32 v89, v38, v42
	v_fma_f32 v32, v34, v28, -v32
	v_mul_f32_e32 v82, v53, v23
	v_add_f32_e32 v41, v33, v75
	v_fmac_f32_e32 v63, -0.5, v81
	v_fmac_f32_e32 v59, -0.5, v55
	v_add_f32_e32 v43, v56, v32
	v_fma_f32 v34, v36, v24, -v72
	v_add_f32_e32 v44, v32, v35
	v_sub_f32_e32 v53, v32, v35
	s_delay_alu instid0(VALU_DEP_4)
	v_dual_add_f32 v39, v57, v33 :: v_dual_add_f32 v32, v43, v35
	v_add_f32_e32 v43, v86, v85
	v_fma_f32 v36, v40, v26, -v76
	v_fma_f32 v40, v52, v22, -v82
	v_dual_add_f32 v87, v62, v38 :: v_dual_add_f32 v78, v79, v83
	v_sub_f32_e32 v90, v38, v42
	s_delay_alu instid0(VALU_DEP_4)
	v_sub_f32_e32 v74, v34, v36
	v_fma_f32 v35, -0.5, v41, v57
	v_sub_f32_e32 v52, v33, v75
	v_dual_sub_f32 v84, v37, v40 :: v_dual_add_f32 v33, v39, v75
	v_fma_f32 v39, -0.5, v78, v61
	v_dual_sub_f32 v54, v73, v77 :: v_dual_add_f32 v73, v34, v36
	v_dual_add_f32 v76, v37, v40 :: v_dual_fmamk_f32 v57, v90, 0xbf5db3d7, v63
	v_add_f32_e32 v72, v58, v34
	v_add_f32_e32 v80, v60, v37
	;; [unrolled: 1-line block ×3, first 2 shown]
	v_fmamk_f32 v45, v53, 0xbf5db3d7, v35
	v_fmac_f32_e32 v35, 0x3f5db3d7, v53
	v_fmac_f32_e32 v63, 0x3f5db3d7, v90
	v_fmamk_f32 v53, v74, 0xbf5db3d7, v59
	v_fmac_f32_e32 v59, 0x3f5db3d7, v74
	v_fma_f32 v34, -0.5, v44, v56
	v_fma_f32 v58, -0.5, v73, v58
	v_add_f32_e32 v82, v61, v79
	v_sub_f32_e32 v79, v79, v83
	v_fma_f32 v38, -0.5, v76, v60
	v_fma_f32 v62, -0.5, v89, v62
	v_fmamk_f32 v44, v52, 0x3f5db3d7, v34
	v_dual_fmac_f32 v34, 0xbf5db3d7, v52 :: v_dual_fmamk_f32 v55, v84, 0xbf5db3d7, v39
	v_dual_fmamk_f32 v52, v54, 0x3f5db3d7, v58 :: v_dual_fmac_f32 v39, 0x3f5db3d7, v84
	v_add_f32_e32 v36, v72, v36
	v_dual_fmac_f32 v58, 0xbf5db3d7, v54 :: v_dual_add_f32 v41, v82, v83
	v_fmamk_f32 v54, v79, 0x3f5db3d7, v38
	v_dual_add_f32 v40, v80, v40 :: v_dual_and_b32 v61, 0xffff, v66
	v_add_f32_e32 v42, v87, v42
	v_fmac_f32_e32 v38, 0xbf5db3d7, v79
	v_fmamk_f32 v56, v88, 0x3f5db3d7, v62
	v_fmac_f32_e32 v62, 0xbf5db3d7, v88
	ds_store_2addr_b64 v157, v[32:33], v[44:45] offset1:12
	ds_store_b64 v157, v[34:35] offset:192
	ds_store_2addr_b64 v158, v[36:37], v[52:53] offset1:12
	ds_store_b64 v158, v[58:59] offset:192
	ds_store_2addr_b64 v156, v[40:41], v[54:55] offset1:12
	ds_store_b64 v156, v[38:39] offset:192
	ds_store_2addr_b64 v155, v[42:43], v[56:57] offset1:12
	ds_store_b64 v155, v[62:63] offset:192
	v_lshlrev_b32_e32 v32, 4, v69
	v_lshlrev_b32_e32 v71, 4, v68
	;; [unrolled: 1-line block ×3, first 2 shown]
	global_wb scope:SCOPE_SE
	s_wait_dscnt 0x0
	s_barrier_signal -1
	s_barrier_wait -1
	global_inv scope:SCOPE_SE
	s_clause 0x3
	global_load_b128 v[44:47], v[46:47], off offset:272
	global_load_b128 v[40:43], v71, s[10:11] offset:272
	global_load_b128 v[36:39], v32, s[10:11] offset:272
	;; [unrolled: 1-line block ×3, first 2 shown]
	v_and_b32_e32 v60, 0xffff, v65
	v_and_b32_e32 v62, 0xffff, v67
	s_wait_alu 0xfffd
	v_cndmask_b32_e64 v65, 0, 0x6c, vcc_lo
	v_mul_u32_u24_e32 v67, 0x6c, v61
	ds_load_2addr_b64 v[56:59], v150 offset0:120 offset1:183
	v_mul_u32_u24_e32 v66, 0x6c, v60
	ds_load_2addr_b64 v[52:55], v149 offset0:124 offset1:187
	v_add_lshl_u32 v163, v64, v65, 3
	v_add_lshl_u32 v161, v67, v69, 3
	v_mul_u32_u24_e32 v71, 0x6c, v62
	v_add_lshl_u32 v162, v66, v68, 3
	ds_load_2addr_b64 v[64:67], v51 offset0:118 offset1:181
	ds_load_2addr_b64 v[60:63], v50 offset0:122 offset1:185
	v_cmp_gt_u16_e32 vcc_lo, 45, v48
	v_add_lshl_u32 v160, v71, v70, 3
	ds_load_2addr_b64 v[68:71], v136 offset1:63
	ds_load_2addr_b64 v[74:77], v136 offset0:126 offset1:189
	global_wb scope:SCOPE_SE
	s_wait_loadcnt_dscnt 0x0
	s_barrier_signal -1
	s_barrier_wait -1
	global_inv scope:SCOPE_SE
	v_dual_mul_f32 v51, v53, v45 :: v_dual_mul_f32 v82, v58, v43
	v_mul_f32_e32 v89, v67, v35
	v_mul_f32_e32 v81, v59, v43
	v_dual_mul_f32 v73, v55, v41 :: v_dual_mul_f32 v90, v66, v35
	s_delay_alu instid0(VALU_DEP_4) | instskip(NEXT) | instid1(VALU_DEP_4)
	v_fmac_f32_e32 v82, v59, v42
	v_fma_f32 v59, v66, v34, -v89
	v_dual_mul_f32 v78, v54, v41 :: v_dual_mul_f32 v79, v57, v47
	s_delay_alu instid0(VALU_DEP_4) | instskip(NEXT) | instid1(VALU_DEP_2)
	v_dual_fmac_f32 v90, v67, v34 :: v_dual_mul_f32 v83, v61, v37
	v_dual_mul_f32 v87, v65, v39 :: v_dual_fmac_f32 v78, v55, v40
	v_fma_f32 v55, v58, v42, -v81
	v_mul_f32_e32 v86, v62, v33
	v_mul_f32_e32 v85, v63, v33
	v_fma_f32 v51, v52, v44, -v51
	v_dual_add_f32 v67, v78, v82 :: v_dual_mul_f32 v72, v52, v45
	s_delay_alu instid0(VALU_DEP_4) | instskip(SKIP_2) | instid1(VALU_DEP_3)
	v_fmac_f32_e32 v86, v63, v32
	v_fma_f32 v52, v54, v40, -v73
	v_fma_f32 v54, v60, v36, -v83
	v_sub_f32_e32 v89, v86, v90
	v_dual_add_f32 v91, v77, v86 :: v_dual_mul_f32 v84, v60, v37
	v_add_f32_e32 v86, v86, v90
	v_mul_f32_e32 v88, v64, v39
	v_add_f32_e32 v73, v52, v55
	s_delay_alu instid0(VALU_DEP_3) | instskip(NEXT) | instid1(VALU_DEP_3)
	v_fmac_f32_e32 v77, -0.5, v86
	v_fmac_f32_e32 v88, v65, v38
	v_add_f32_e32 v65, v71, v78
	v_dual_fmac_f32 v71, -0.5, v67 :: v_dual_fmac_f32 v84, v61, v36
	v_fmac_f32_e32 v72, v53, v44
	v_fma_f32 v53, v56, v46, -v79
	v_mul_f32_e32 v80, v56, v47
	v_fma_f32 v56, v62, v32, -v85
	v_add_f32_e32 v83, v84, v88
	s_delay_alu instid0(VALU_DEP_4) | instskip(SKIP_1) | instid1(VALU_DEP_4)
	v_dual_add_f32 v62, v68, v51 :: v_dual_add_f32 v63, v51, v53
	v_add_f32_e32 v79, v75, v84
	v_add_f32_e32 v92, v76, v56
	s_delay_alu instid0(VALU_DEP_4) | instskip(SKIP_4) | instid1(VALU_DEP_4)
	v_fma_f32 v75, -0.5, v83, v75
	v_fmac_f32_e32 v80, v57, v46
	v_fma_f32 v57, v64, v38, -v87
	v_sub_f32_e32 v64, v51, v53
	v_dual_sub_f32 v94, v56, v59 :: v_dual_add_f32 v51, v62, v53
	v_sub_f32_e32 v61, v72, v80
	s_delay_alu instid0(VALU_DEP_4) | instskip(SKIP_3) | instid1(VALU_DEP_4)
	v_add_f32_e32 v85, v54, v57
	v_fma_f32 v53, -0.5, v63, v68
	v_dual_sub_f32 v81, v84, v88 :: v_dual_add_f32 v84, v74, v54
	v_add_f32_e32 v93, v56, v59
	v_fma_f32 v74, -0.5, v85, v74
	v_fmamk_f32 v85, v94, 0xbf5db3d7, v77
	v_sub_f32_e32 v66, v78, v82
	v_add_f32_e32 v56, v65, v82
	v_dual_add_f32 v82, v92, v59 :: v_dual_fmamk_f32 v59, v61, 0x3f5db3d7, v53
	v_dual_fmac_f32 v53, 0xbf5db3d7, v61 :: v_dual_add_f32 v60, v72, v80
	v_add_f32_e32 v58, v69, v72
	v_add_f32_e32 v72, v70, v52
	v_sub_f32_e32 v87, v54, v57
	v_fma_f32 v70, -0.5, v73, v70
	v_fma_f32 v54, -0.5, v60, v69
	v_sub_f32_e32 v78, v52, v55
	v_fma_f32 v76, -0.5, v93, v76
	v_fmamk_f32 v73, v87, 0xbf5db3d7, v75
	v_fmamk_f32 v61, v66, 0x3f5db3d7, v70
	v_add_f32_e32 v52, v58, v80
	v_fmamk_f32 v60, v64, 0xbf5db3d7, v54
	v_dual_fmac_f32 v54, 0x3f5db3d7, v64 :: v_dual_add_f32 v55, v72, v55
	v_fmamk_f32 v62, v78, 0xbf5db3d7, v71
	v_fmac_f32_e32 v70, 0xbf5db3d7, v66
	v_dual_fmac_f32 v71, 0x3f5db3d7, v78 :: v_dual_add_f32 v58, v79, v88
	v_dual_add_f32 v57, v84, v57 :: v_dual_fmamk_f32 v72, v81, 0x3f5db3d7, v74
	v_dual_add_f32 v83, v91, v90 :: v_dual_fmac_f32 v74, 0xbf5db3d7, v81
	v_dual_fmac_f32 v75, 0x3f5db3d7, v87 :: v_dual_fmamk_f32 v84, v89, 0x3f5db3d7, v76
	v_fmac_f32_e32 v76, 0xbf5db3d7, v89
	v_fmac_f32_e32 v77, 0x3f5db3d7, v94
	ds_store_2addr_b64 v163, v[51:52], v[59:60] offset1:36
	ds_store_b64 v163, v[53:54] offset:576
	ds_store_2addr_b64 v162, v[55:56], v[61:62] offset1:36
	ds_store_b64 v162, v[70:71] offset:576
	ds_store_2addr_b64 v161, v[57:58], v[72:73] offset1:36
	ds_store_b64 v161, v[74:75] offset:576
	ds_store_2addr_b64 v160, v[82:83], v[84:85] offset1:36
	ds_store_b64 v160, v[76:77] offset:576
	global_wb scope:SCOPE_SE
	s_wait_dscnt 0x0
	s_barrier_signal -1
	s_barrier_wait -1
	global_inv scope:SCOPE_SE
	ds_load_b64 v[133:134], v136 offset:5184
	ds_load_2addr_b64 v[78:81], v136 offset1:108
	ds_load_2addr_b64 v[94:97], v149 offset0:88 offset1:196
	ds_load_2addr_b64 v[90:93], v150 offset0:48 offset1:156
                                        ; implicit-def: $vgpr88
	s_and_saveexec_b32 s0, vcc_lo
	s_cbranch_execz .LBB0_3
; %bb.2:
	ds_load_2addr_b64 v[86:89], v150 offset0:111 offset1:219
	ds_load_2addr_b64 v[72:75], v136 offset0:63 offset1:171
	;; [unrolled: 1-line block ×3, first 2 shown]
	ds_load_b64 v[131:132], v136 offset:5688
	s_wait_dscnt 0x3
	v_dual_mov_b32 v76, v86 :: v_dual_mov_b32 v77, v87
.LBB0_3:
	s_wait_alu 0xfffe
	s_or_b32 exec_lo, exec_lo, s0
	v_mad_co_u64_u32 v[50:51], null, v135, 48, s[10:11]
	v_subrev_nc_u32_e32 v48, 45, v135
	v_lshlrev_b32_e32 v87, 3, v164
	s_clause 0x2
	global_load_b128 v[68:71], v[50:51], off offset:848
	global_load_b128 v[64:67], v[50:51], off offset:864
	;; [unrolled: 1-line block ×3, first 2 shown]
	v_cndmask_b32_e32 v48, v48, v49, vcc_lo
	v_lshlrev_b32_e32 v86, 4, v159
	s_delay_alu instid0(VALU_DEP_2) | instskip(SKIP_1) | instid1(VALU_DEP_2)
	v_mul_i32_i24_e32 v49, 48, v48
	v_mul_hi_i32_i24_e32 v48, 48, v48
	v_add_co_u32 v56, s0, s10, v49
	s_wait_alu 0xf1ff
	s_delay_alu instid0(VALU_DEP_2)
	v_add_co_ci_u32_e64 v57, s0, s11, v48, s0
	s_clause 0x2
	global_load_b128 v[52:55], v[56:57], off offset:848
	global_load_b128 v[48:51], v[56:57], off offset:864
	;; [unrolled: 1-line block ×3, first 2 shown]
	s_wait_loadcnt_dscnt 0x502
	v_mul_f32_e32 v159, v81, v69
	s_wait_dscnt 0x1
	v_dual_mul_f32 v164, v80, v69 :: v_dual_mul_f32 v165, v95, v71
	s_wait_loadcnt_dscnt 0x400
	v_dual_mul_f32 v168, v96, v65 :: v_dual_mul_f32 v169, v91, v67
	s_wait_loadcnt 0x3
	v_dual_mul_f32 v170, v90, v67 :: v_dual_mul_f32 v171, v93, v61
	v_dual_mul_f32 v172, v92, v61 :: v_dual_mul_f32 v173, v134, v63
	;; [unrolled: 1-line block ×3, first 2 shown]
	v_fma_f32 v90, v90, v66, -v169
	v_fmac_f32_e32 v164, v81, v68
	v_fma_f32 v81, v94, v70, -v165
	v_fmac_f32_e32 v172, v93, v60
	v_fmac_f32_e32 v170, v91, v66
	v_fma_f32 v91, v92, v60, -v171
	v_fmac_f32_e32 v166, v95, v70
	v_fma_f32 v94, v96, v64, -v167
	v_fma_f32 v80, v80, v68, -v159
	;; [unrolled: 1-line block ×3, first 2 shown]
	v_add_f32_e32 v96, v81, v91
	v_sub_f32_e32 v81, v81, v91
	v_dual_mul_f32 v174, v133, v63 :: v_dual_add_f32 v133, v94, v90
	v_fmac_f32_e32 v168, v97, v64
	v_dual_add_f32 v97, v166, v172 :: v_dual_add_f32 v92, v80, v95
	s_wait_loadcnt 0x1
	s_delay_alu instid0(VALU_DEP_3)
	v_dual_mul_f32 v167, v85, v49 :: v_dual_fmac_f32 v174, v134, v62
	v_dual_mul_f32 v159, v75, v53 :: v_dual_sub_f32 v80, v80, v95
	s_wait_loadcnt 0x0
	v_dual_mul_f32 v171, v89, v57 :: v_dual_sub_f32 v90, v90, v94
	v_mul_f32_e32 v169, v77, v51
	v_add_f32_e32 v93, v164, v174
	v_sub_f32_e32 v95, v164, v174
	v_dual_sub_f32 v91, v166, v172 :: v_dual_add_f32 v134, v168, v170
	v_dual_mul_f32 v165, v83, v55 :: v_dual_sub_f32 v94, v170, v168
	v_mul_f32_e32 v173, v132, v59
	v_dual_mul_f32 v170, v76, v51 :: v_dual_add_f32 v179, v90, v81
	v_mul_f32_e32 v172, v88, v57
	v_dual_mul_f32 v174, v131, v59 :: v_dual_sub_f32 v181, v90, v81
	v_add_f32_e32 v176, v97, v93
	v_add_f32_e32 v180, v94, v91
	v_sub_f32_e32 v182, v94, v91
	v_dual_sub_f32 v91, v91, v95 :: v_dual_sub_f32 v178, v97, v93
	v_sub_f32_e32 v97, v134, v97
	v_dual_mul_f32 v164, v74, v53 :: v_dual_add_f32 v175, v96, v92
	v_dual_mul_f32 v166, v82, v55 :: v_dual_sub_f32 v177, v96, v92
	v_dual_mul_f32 v168, v84, v49 :: v_dual_sub_f32 v93, v93, v134
	v_sub_f32_e32 v81, v81, v80
	v_fma_f32 v74, v74, v52, -v159
	s_delay_alu instid0(VALU_DEP_4)
	v_fmac_f32_e32 v166, v83, v54
	v_fma_f32 v83, v131, v58, -v173
	v_fmac_f32_e32 v164, v75, v52
	v_fma_f32 v75, v82, v54, -v165
	v_fma_f32 v82, v84, v48, -v167
	v_fmac_f32_e32 v170, v77, v50
	v_fma_f32 v77, v88, v56, -v171
	v_fmac_f32_e32 v172, v89, v56
	v_add_f32_e32 v84, v133, v175
	v_dual_sub_f32 v96, v133, v96 :: v_dual_add_f32 v89, v180, v95
	v_dual_sub_f32 v92, v92, v133 :: v_dual_add_f32 v167, v74, v83
	;; [unrolled: 1-line block ×3, first 2 shown]
	v_sub_f32_e32 v75, v75, v77
	v_dual_add_f32 v133, v78, v84 :: v_dual_fmac_f32 v174, v132, v58
	v_add_f32_e32 v171, v166, v172
	v_fmac_f32_e32 v168, v85, v48
	v_dual_sub_f32 v90, v80, v90 :: v_dual_mul_f32 v159, 0x3f5ff5aa, v81
	v_dual_sub_f32 v94, v95, v94 :: v_dual_mul_f32 v165, 0x3f5ff5aa, v91
	v_fma_f32 v76, v76, v50, -v169
	v_add_f32_e32 v85, v134, v176
	v_mul_f32_e32 v131, 0xbf08b237, v181
	v_add_f32_e32 v169, v164, v174
	v_dual_mul_f32 v132, 0xbf08b237, v182 :: v_dual_sub_f32 v77, v166, v172
	v_add_f32_e32 v172, v168, v170
	v_add_f32_e32 v88, v179, v80
	v_mul_f32_e32 v80, 0x3f4a47b2, v92
	v_dual_mul_f32 v95, 0x3d64c772, v97 :: v_dual_sub_f32 v164, v164, v174
	v_fmamk_f32 v175, v90, 0x3eae86e6, v131
	v_add_f32_e32 v166, v82, v76
	v_sub_f32_e32 v76, v76, v82
	v_sub_f32_e32 v82, v170, v168
	v_add_f32_e32 v134, v79, v85
	v_fma_f32 v131, 0x3f5ff5aa, v81, -v131
	v_dual_sub_f32 v79, v171, v169 :: v_dual_fmamk_f32 v174, v94, 0x3eae86e6, v132
	v_fma_f32 v132, 0x3f5ff5aa, v91, -v132
	v_add_f32_e32 v91, v171, v169
	v_dual_sub_f32 v81, v172, v171 :: v_dual_mul_f32 v92, 0x3f4a47b2, v93
	v_mul_f32_e32 v93, 0x3d64c772, v96
	v_fma_f32 v95, 0x3f3bfb3b, v178, -v95
	v_fma_f32 v168, 0xbf3bfb3b, v177, -v80
	v_fma_f32 v159, 0xbeae86e6, v90, -v159
	v_fma_f32 v94, 0xbeae86e6, v94, -v165
	v_sub_f32_e32 v165, v167, v166
	v_fmamk_f32 v97, v97, 0x3d64c772, v92
	v_fma_f32 v93, 0x3f3bfb3b, v177, -v93
	v_add_f32_e32 v90, v83, v167
	v_dual_sub_f32 v78, v83, v167 :: v_dual_fmac_f32 v175, 0x3ee1c552, v88
	v_dual_sub_f32 v167, v169, v172 :: v_dual_fmamk_f32 v96, v96, 0x3d64c772, v80
	v_dual_sub_f32 v80, v166, v83 :: v_dual_fmac_f32 v131, 0x3ee1c552, v88
	v_sub_f32_e32 v171, v82, v77
	v_add_f32_e32 v83, v76, v75
	v_dual_add_f32 v169, v82, v77 :: v_dual_sub_f32 v170, v76, v75
	v_fmac_f32_e32 v159, 0x3ee1c552, v88
	v_dual_sub_f32 v76, v74, v76 :: v_dual_add_f32 v179, v172, v91
	v_sub_f32_e32 v173, v164, v82
	v_sub_f32_e32 v75, v75, v74
	v_dual_sub_f32 v77, v77, v164 :: v_dual_fmamk_f32 v176, v84, 0xbf955555, v133
	v_add_f32_e32 v83, v83, v74
	v_fmamk_f32 v177, v85, 0xbf955555, v134
	v_fma_f32 v92, 0xbf3bfb3b, v178, -v92
	v_fmac_f32_e32 v174, 0x3ee1c552, v89
	v_fmac_f32_e32 v132, 0x3ee1c552, v89
	v_dual_fmac_f32 v94, 0x3ee1c552, v89 :: v_dual_add_f32 v73, v73, v179
	v_dual_add_f32 v178, v166, v90 :: v_dual_mul_f32 v89, 0x3f5ff5aa, v75
	v_mul_f32_e32 v90, 0x3f4a47b2, v167
	v_dual_mul_f32 v82, 0xbf08b237, v171 :: v_dual_add_f32 v95, v95, v177
	v_dual_mul_f32 v88, 0x3f5ff5aa, v77 :: v_dual_add_f32 v75, v96, v176
	v_add_f32_e32 v77, v97, v177
	v_dual_add_f32 v84, v169, v164 :: v_dual_mul_f32 v85, 0xbf08b237, v170
	v_dual_mul_f32 v74, 0x3f4a47b2, v165 :: v_dual_add_f32 v97, v168, v176
	s_delay_alu instid0(VALU_DEP_3)
	v_sub_f32_e32 v165, v77, v175
	v_add_f32_e32 v96, v93, v176
	v_dual_add_f32 v176, v92, v177 :: v_dual_fmamk_f32 v91, v173, 0x3eae86e6, v82
	v_dual_add_f32 v72, v72, v178 :: v_dual_add_f32 v169, v131, v95
	v_dual_fmamk_f32 v180, v81, 0x3d64c772, v90 :: v_dual_sub_f32 v171, v95, v131
	v_fma_f32 v181, 0xbf3bfb3b, v79, -v90
	v_fma_f32 v92, 0xbeae86e6, v76, -v89
	v_dual_add_f32 v164, v174, v75 :: v_dual_fmamk_f32 v95, v179, 0xbf955555, v73
	v_fmamk_f32 v177, v80, 0x3d64c772, v74
	v_fma_f32 v74, 0xbf3bfb3b, v78, -v74
	v_fmamk_f32 v90, v76, 0x3eae86e6, v85
	v_dual_add_f32 v166, v94, v97 :: v_dual_fmac_f32 v91, 0x3ee1c552, v84
	v_sub_f32_e32 v167, v176, v159
	v_fma_f32 v93, 0xbeae86e6, v173, -v88
	v_dual_add_f32 v170, v132, v96 :: v_dual_add_f32 v175, v175, v77
	v_sub_f32_e32 v172, v97, v94
	s_delay_alu instid0(VALU_DEP_3) | instskip(SKIP_4) | instid1(VALU_DEP_2)
	v_dual_fmac_f32 v92, 0x3ee1c552, v83 :: v_dual_fmac_f32 v93, 0x3ee1c552, v84
	v_fmamk_f32 v94, v178, 0xbf955555, v72
	v_sub_f32_e32 v168, v96, v132
	v_dual_add_f32 v132, v181, v95 :: v_dual_add_f32 v173, v159, v176
	v_dual_sub_f32 v174, v75, v174 :: v_dual_add_f32 v131, v180, v95
	v_dual_fmac_f32 v90, 0x3ee1c552, v83 :: v_dual_add_f32 v75, v92, v132
	v_add_f32_e32 v97, v74, v94
	v_add_f32_e32 v96, v177, v94
	ds_store_2addr_b64 v136, v[133:134], v[164:165] offset1:108
	ds_store_2addr_b64 v149, v[166:167], v[168:169] offset0:88 offset1:196
	ds_store_2addr_b64 v150, v[170:171], v[172:173] offset0:48 offset1:156
	ds_store_b64 v136, v[174:175] offset:5184
	v_dual_add_f32 v77, v90, v131 :: v_dual_sub_f32 v74, v97, v93
	v_sub_f32_e32 v76, v96, v91
	s_and_saveexec_b32 s0, vcc_lo
	s_cbranch_execz .LBB0_5
; %bb.4:
	v_dual_mul_f32 v81, 0x3d64c772, v81 :: v_dual_mul_f32 v80, 0x3d64c772, v80
	v_dual_mul_f32 v79, 0x3f3bfb3b, v79 :: v_dual_mul_f32 v78, 0x3f3bfb3b, v78
	;; [unrolled: 1-line block ×3, first 2 shown]
	s_delay_alu instid0(VALU_DEP_2) | instskip(NEXT) | instid1(VALU_DEP_3)
	v_dual_sub_f32 v82, v88, v82 :: v_dual_sub_f32 v79, v79, v81
	v_dual_sub_f32 v81, v89, v85 :: v_dual_sub_f32 v78, v78, v80
	v_dual_sub_f32 v85, v131, v90 :: v_dual_add_nc_u32 v88, 0x800, v136
	s_delay_alu instid0(VALU_DEP_3) | instskip(NEXT) | instid1(VALU_DEP_3)
	v_add_f32_e32 v80, v79, v95
	v_dual_add_f32 v81, v83, v81 :: v_dual_add_f32 v82, v84, v82
	s_delay_alu instid0(VALU_DEP_4) | instskip(SKIP_1) | instid1(VALU_DEP_3)
	v_dual_add_f32 v83, v78, v94 :: v_dual_add_f32 v84, v91, v96
	v_add_nc_u32_e32 v89, 0xc00, v136
	v_sub_f32_e32 v79, v80, v81
	s_delay_alu instid0(VALU_DEP_3)
	v_dual_add_f32 v81, v81, v80 :: v_dual_sub_f32 v80, v83, v82
	v_dual_add_f32 v78, v82, v83 :: v_dual_sub_f32 v83, v132, v92
	v_add_f32_e32 v82, v93, v97
	ds_store_2addr_b64 v136, v[72:73], v[84:85] offset0:63 offset1:171
	ds_store_2addr_b64 v88, v[82:83], v[80:81] offset0:23 offset1:131
	;; [unrolled: 1-line block ×3, first 2 shown]
	ds_store_b64 v136, v[76:77] offset:5688
.LBB0_5:
	s_wait_alu 0xfffe
	s_or_b32 exec_lo, exec_lo, s0
	global_wb scope:SCOPE_SE
	s_wait_dscnt 0x0
	s_barrier_signal -1
	s_barrier_wait -1
	global_inv scope:SCOPE_SE
	global_load_b64 v[72:73], v[129:130], off offset:6048
	v_lshlrev_b32_e32 v78, 3, v135
	s_add_nc_u64 s[0:1], s[8:9], 0x17a0
	s_clause 0xa
	global_load_b64 v[83:84], v78, s[0:1] offset:504
	global_load_b64 v[96:97], v78, s[0:1] offset:3024
	;; [unrolled: 1-line block ×11, first 2 shown]
	ds_load_2addr_b64 v[79:82], v136 offset1:63
	s_wait_loadcnt_dscnt 0xa00
	v_dual_mul_f32 v85, v81, v84 :: v_dual_mul_f32 v78, v80, v73
	v_mul_f32_e32 v89, v79, v73
	s_delay_alu instid0(VALU_DEP_2) | instskip(NEXT) | instid1(VALU_DEP_3)
	v_fmac_f32_e32 v85, v82, v83
	v_fma_f32 v88, v79, v72, -v78
	v_add_nc_u32_e32 v79, 0x400, v136
	s_delay_alu instid0(VALU_DEP_4)
	v_fmac_f32_e32 v89, v80, v72
	v_add_nc_u32_e32 v80, 0x800, v136
	ds_store_b64 v136, v[88:89]
	ds_load_2addr_b64 v[88:91], v80 offset0:122 offset1:185
	v_mul_f32_e32 v73, v82, v84
	v_add_nc_u32_e32 v78, 0xc00, v136
	v_add_nc_u32_e32 v72, 0x1000, v136
	s_wait_loadcnt_dscnt 0x900
	v_mul_f32_e32 v82, v88, v97
	v_fma_f32 v84, v81, v83, -v73
	s_wait_loadcnt 0x8
	v_mul_f32_e32 v83, v91, v134
	v_mul_f32_e32 v73, v89, v97
	ds_load_2addr_b64 v[92:95], v136 offset0:126 offset1:189
	ds_load_2addr_b64 v[129:132], v78 offset0:120 offset1:183
	;; [unrolled: 1-line block ×4, first 2 shown]
	v_mul_f32_e32 v97, v90, v134
	v_fma_f32 v81, v88, v96, -v73
	v_fmac_f32_e32 v82, v89, v96
	v_fma_f32 v96, v90, v133, -v83
	s_wait_loadcnt_dscnt 0x402
	v_dual_mul_f32 v159, v93, v150 :: v_dual_mul_f32 v188, v132, v177
	v_mul_f32_e32 v134, v92, v150
	v_mul_f32_e32 v186, v130, v173
	v_dual_mul_f32 v150, v129, v173 :: v_dual_mul_f32 v187, v95, v175
	s_wait_loadcnt_dscnt 0x200
	v_dual_mul_f32 v190, v169, v181 :: v_dual_mul_f32 v173, v94, v175
	s_wait_loadcnt 0x0
	v_mul_f32_e32 v192, v171, v185
	v_mul_f32_e32 v175, v131, v177
	v_dual_mul_f32 v189, v165, v179 :: v_dual_fmac_f32 v150, v130, v172
	v_dual_mul_f32 v177, v164, v179 :: v_dual_fmac_f32 v134, v93, v149
	v_mul_f32_e32 v179, v168, v181
	v_mul_f32_e32 v191, v167, v183
	;; [unrolled: 1-line block ×4, first 2 shown]
	v_fmac_f32_e32 v97, v91, v133
	v_fma_f32 v133, v92, v149, -v159
	v_fma_f32 v149, v129, v172, -v186
	;; [unrolled: 1-line block ×3, first 2 shown]
	v_fmac_f32_e32 v173, v95, v174
	v_fma_f32 v174, v131, v176, -v188
	v_fmac_f32_e32 v175, v132, v176
	v_fma_f32 v176, v164, v178, -v189
	v_fmac_f32_e32 v177, v165, v178
	v_fma_f32 v178, v168, v180, -v190
	v_fmac_f32_e32 v179, v169, v180
	v_fma_f32 v180, v166, v182, -v191
	v_fmac_f32_e32 v181, v167, v182
	v_fma_f32 v182, v170, v184, -v192
	v_fmac_f32_e32 v183, v171, v184
	ds_store_2addr_b64 v136, v[84:85], v[133:134] offset0:63 offset1:126
	ds_store_2addr_b64 v80, v[96:97], v[149:150] offset0:185 offset1:248
	;; [unrolled: 1-line block ×5, first 2 shown]
	ds_store_b64 v136, v[182:183] offset:5544
	global_wb scope:SCOPE_SE
	s_wait_dscnt 0x0
	s_barrier_signal -1
	s_barrier_wait -1
	global_inv scope:SCOPE_SE
	ds_load_2addr_b64 v[81:84], v136 offset1:63
	ds_load_2addr_b64 v[88:91], v80 offset0:122 offset1:185
	ds_load_2addr_b64 v[92:95], v136 offset0:126 offset1:189
	;; [unrolled: 1-line block ×5, first 2 shown]
	global_wb scope:SCOPE_SE
	s_wait_dscnt 0x0
	s_barrier_signal -1
	s_barrier_wait -1
	global_inv scope:SCOPE_SE
	v_dual_sub_f32 v133, v81, v88 :: v_dual_sub_f32 v134, v82, v89
	v_dual_sub_f32 v90, v83, v90 :: v_dual_sub_f32 v91, v84, v91
	;; [unrolled: 1-line block ×6, first 2 shown]
	v_fma_f32 v131, v81, 2.0, -v133
	v_fma_f32 v132, v82, 2.0, -v134
	;; [unrolled: 1-line block ×12, first 2 shown]
	ds_store_b128 v137, v[131:134]
	ds_store_b128 v141, v[88:91]
	;; [unrolled: 1-line block ×6, first 2 shown]
	global_wb scope:SCOPE_SE
	s_wait_dscnt 0x0
	s_barrier_signal -1
	s_barrier_wait -1
	global_inv scope:SCOPE_SE
	ds_load_2addr_b64 v[81:84], v80 offset0:122 offset1:185
	ds_load_2addr_b64 v[85:88], v78 offset0:120 offset1:183
	;; [unrolled: 1-line block ×3, first 2 shown]
	ds_load_2addr_b64 v[93:96], v136 offset1:63
	ds_load_2addr_b64 v[129:132], v136 offset0:126 offset1:189
	ds_load_2addr_b64 v[164:167], v79 offset0:124 offset1:187
	global_wb scope:SCOPE_SE
	s_wait_dscnt 0x0
	s_barrier_signal -1
	s_barrier_wait -1
	global_inv scope:SCOPE_SE
	v_mul_f32_e32 v140, v128, v88
	v_mul_f32_e32 v128, v128, v87
	v_dual_mul_f32 v137, v124, v85 :: v_dual_mul_f32 v142, v139, v92
	v_mul_f32_e32 v134, v124, v86
	v_mul_f32_e32 v141, v124, v90
	s_delay_alu instid0(VALU_DEP_4)
	v_fma_f32 v88, v127, v88, -v128
	v_mul_f32_e32 v139, v139, v91
	v_fma_f32 v86, v123, v86, -v137
	v_mul_f32_e32 v97, v124, v81
	v_fmac_f32_e32 v134, v123, v85
	v_sub_f32_e32 v88, v132, v88
	v_fma_f32 v92, v125, v92, -v139
	v_sub_f32_e32 v86, v130, v86
	v_mul_f32_e32 v73, v124, v82
	v_mul_f32_e32 v124, v124, v89
	v_fma_f32 v82, v123, v82, -v97
	v_sub_f32_e32 v92, v167, v92
	v_fmac_f32_e32 v140, v127, v87
	v_fmac_f32_e32 v73, v123, v81
	v_fma_f32 v90, v123, v90, -v124
	v_mul_f32_e32 v133, v126, v84
	v_dual_mul_f32 v126, v126, v83 :: v_dual_fmac_f32 v141, v123, v89
	v_fmac_f32_e32 v142, v125, v91
	s_delay_alu instid0(VALU_DEP_3) | instskip(NEXT) | instid1(VALU_DEP_3)
	v_dual_sub_f32 v90, v165, v90 :: v_dual_fmac_f32 v133, v138, v83
	v_fma_f32 v84, v138, v84, -v126
	v_dual_sub_f32 v81, v93, v73 :: v_dual_sub_f32 v82, v94, v82
	v_sub_f32_e32 v85, v129, v134
	s_delay_alu instid0(VALU_DEP_3)
	v_dual_sub_f32 v83, v95, v133 :: v_dual_sub_f32 v84, v96, v84
	v_sub_f32_e32 v87, v131, v140
	v_sub_f32_e32 v89, v164, v141
	;; [unrolled: 1-line block ×3, first 2 shown]
	v_fma_f32 v93, v93, 2.0, -v81
	v_fma_f32 v94, v94, 2.0, -v82
	v_fma_f32 v95, v95, 2.0, -v83
	v_fma_f32 v96, v96, 2.0, -v84
	v_fma_f32 v123, v129, 2.0, -v85
	v_fma_f32 v124, v130, 2.0, -v86
	v_fma_f32 v125, v131, 2.0, -v87
	v_fma_f32 v126, v132, 2.0, -v88
	v_fma_f32 v127, v164, 2.0, -v89
	v_fma_f32 v128, v165, 2.0, -v90
	v_fma_f32 v129, v166, 2.0, -v91
	v_fma_f32 v130, v167, 2.0, -v92
	ds_store_2addr_b64 v146, v[93:94], v[81:82] offset1:2
	ds_store_2addr_b64 v148, v[95:96], v[83:84] offset1:2
	;; [unrolled: 1-line block ×6, first 2 shown]
	global_wb scope:SCOPE_SE
	s_wait_dscnt 0x0
	s_barrier_signal -1
	s_barrier_wait -1
	global_inv scope:SCOPE_SE
	ds_load_2addr_b64 v[81:84], v79 offset0:124 offset1:187
	ds_load_2addr_b64 v[85:88], v78 offset0:120 offset1:183
	;; [unrolled: 1-line block ×4, first 2 shown]
	ds_load_2addr_b64 v[123:126], v136 offset1:63
	ds_load_2addr_b64 v[127:130], v136 offset0:126 offset1:189
	global_wb scope:SCOPE_SE
	s_wait_dscnt 0x0
	s_barrier_signal -1
	s_barrier_wait -1
	global_inv scope:SCOPE_SE
	v_dual_mul_f32 v132, v15, v88 :: v_dual_mul_f32 v133, v9, v90
	v_mul_f32_e32 v138, v7, v96
	v_dual_mul_f32 v134, v11, v94 :: v_dual_mul_f32 v9, v9, v89
	s_delay_alu instid0(VALU_DEP_3) | instskip(NEXT) | instid1(VALU_DEP_3)
	v_dual_fmac_f32 v132, v14, v87 :: v_dual_fmac_f32 v133, v8, v89
	v_dual_fmac_f32 v138, v6, v95 :: v_dual_mul_f32 v137, v5, v92
	v_mul_f32_e32 v5, v5, v91
	s_delay_alu instid0(VALU_DEP_4) | instskip(SKIP_1) | instid1(VALU_DEP_4)
	v_dual_mul_f32 v73, v1, v82 :: v_dual_fmac_f32 v134, v10, v93
	v_mul_f32_e32 v11, v11, v93
	v_fmac_f32_e32 v137, v4, v91
	v_mul_f32_e32 v97, v3, v86
	v_fma_f32 v4, v4, v92, -v5
	v_mul_f32_e32 v1, v1, v81
	v_mul_f32_e32 v3, v3, v85
	v_fmac_f32_e32 v73, v0, v81
	v_add_f32_e32 v91, v137, v138
	v_add_f32_e32 v93, v130, v4
	v_fma_f32 v0, v0, v82, -v1
	v_fma_f32 v1, v2, v86, -v3
	v_fma_f32 v3, v8, v90, -v9
	v_fma_f32 v9, v10, v94, -v11
	v_mul_f32_e32 v131, v13, v84
	v_mul_f32_e32 v13, v13, v83
	v_add_f32_e32 v90, v129, v137
	v_add_f32_e32 v8, v0, v1
	s_delay_alu instid0(VALU_DEP_4) | instskip(SKIP_1) | instid1(VALU_DEP_2)
	v_dual_sub_f32 v86, v3, v9 :: v_dual_fmac_f32 v131, v12, v83
	v_fma_f32 v129, -0.5, v91, v129
	v_sub_f32_e32 v83, v131, v132
	v_fmac_f32_e32 v97, v2, v85
	v_mul_f32_e32 v15, v15, v87
	v_fma_f32 v2, v12, v84, -v13
	v_add_f32_e32 v10, v125, v131
	v_dual_add_f32 v84, v127, v133 :: v_dual_add_f32 v87, v128, v3
	s_delay_alu instid0(VALU_DEP_4) | instskip(SKIP_3) | instid1(VALU_DEP_4)
	v_fma_f32 v12, v14, v88, -v15
	v_add_f32_e32 v15, v131, v132
	v_dual_add_f32 v81, v126, v2 :: v_dual_add_f32 v88, v3, v9
	v_fma_f32 v3, -0.5, v8, v124
	v_add_f32_e32 v82, v2, v12
	s_delay_alu instid0(VALU_DEP_4) | instskip(NEXT) | instid1(VALU_DEP_2)
	v_fma_f32 v125, -0.5, v15, v125
	v_dual_add_f32 v5, v123, v73 :: v_dual_fmac_f32 v126, -0.5, v82
	s_delay_alu instid0(VALU_DEP_1) | instskip(SKIP_4) | instid1(VALU_DEP_3)
	v_fmamk_f32 v15, v83, 0x3f5db3d7, v126
	v_fmac_f32_e32 v126, 0xbf5db3d7, v83
	v_mul_f32_e32 v7, v7, v95
	v_sub_f32_e32 v95, v137, v138
	v_sub_f32_e32 v14, v73, v97
	v_fma_f32 v11, v6, v96, -v7
	v_dual_add_f32 v6, v73, v97 :: v_dual_sub_f32 v73, v2, v12
	s_delay_alu instid0(VALU_DEP_2) | instskip(NEXT) | instid1(VALU_DEP_2)
	v_add_f32_e32 v94, v4, v11
	v_fma_f32 v2, -0.5, v6, v123
	v_add_f32_e32 v6, v84, v134
	v_sub_f32_e32 v92, v4, v11
	v_add_f32_e32 v4, v10, v132
	v_dual_fmac_f32 v130, -0.5, v94 :: v_dual_add_f32 v7, v124, v0
	v_dual_add_f32 v10, v90, v138 :: v_dual_add_f32 v11, v93, v11
	s_delay_alu instid0(VALU_DEP_4) | instskip(NEXT) | instid1(VALU_DEP_3)
	v_fmamk_f32 v83, v92, 0xbf5db3d7, v129
	v_dual_fmamk_f32 v84, v95, 0x3f5db3d7, v130 :: v_dual_add_f32 v85, v133, v134
	v_sub_f32_e32 v89, v133, v134
	v_dual_sub_f32 v13, v0, v1 :: v_dual_fmac_f32 v130, 0xbf5db3d7, v95
	v_add_f32_e32 v1, v7, v1
	v_add_f32_e32 v7, v87, v9
	v_fma_f32 v9, -0.5, v88, v128
	v_fma_f32 v8, -0.5, v85, v127
	v_add_f32_e32 v0, v5, v97
	v_add_f32_e32 v5, v81, v12
	v_fmac_f32_e32 v129, 0x3f5db3d7, v92
	v_fmamk_f32 v82, v89, 0x3f5db3d7, v9
	v_fmamk_f32 v12, v13, 0xbf5db3d7, v2
	v_dual_fmac_f32 v2, 0x3f5db3d7, v13 :: v_dual_fmamk_f32 v13, v14, 0x3f5db3d7, v3
	v_fmac_f32_e32 v3, 0xbf5db3d7, v14
	v_fmamk_f32 v14, v73, 0xbf5db3d7, v125
	v_fmac_f32_e32 v125, 0x3f5db3d7, v73
	v_fmamk_f32 v81, v86, 0xbf5db3d7, v8
	v_fmac_f32_e32 v8, 0x3f5db3d7, v86
	v_fmac_f32_e32 v9, 0xbf5db3d7, v89
	ds_store_2addr_b64 v152, v[0:1], v[12:13] offset1:4
	ds_store_b64 v152, v[2:3] offset:64
	ds_store_2addr_b64 v153, v[4:5], v[14:15] offset1:4
	ds_store_b64 v153, v[125:126] offset:64
	;; [unrolled: 2-line block ×4, first 2 shown]
	global_wb scope:SCOPE_SE
	s_wait_dscnt 0x0
	s_barrier_signal -1
	s_barrier_wait -1
	global_inv scope:SCOPE_SE
	ds_load_2addr_b64 v[0:3], v79 offset0:124 offset1:187
	ds_load_2addr_b64 v[4:7], v78 offset0:120 offset1:183
	;; [unrolled: 1-line block ×4, first 2 shown]
	ds_load_2addr_b64 v[81:84], v136 offset1:63
	ds_load_2addr_b64 v[85:88], v136 offset0:126 offset1:189
	global_wb scope:SCOPE_SE
	s_wait_dscnt 0x0
	s_barrier_signal -1
	s_barrier_wait -1
	global_inv scope:SCOPE_SE
	v_mul_f32_e32 v90, v25, v3
	v_mul_f32_e32 v91, v27, v7
	v_dual_mul_f32 v89, v31, v5 :: v_dual_mul_f32 v94, v17, v11
	v_mul_f32_e32 v17, v17, v10
	v_mul_f32_e32 v95, v19, v15
	;; [unrolled: 1-line block ×3, first 2 shown]
	v_fmac_f32_e32 v90, v24, v2
	v_fmac_f32_e32 v91, v26, v6
	v_mul_f32_e32 v31, v31, v4
	v_dual_fmac_f32 v89, v30, v4 :: v_dual_fmac_f32 v94, v16, v10
	v_fma_f32 v4, v16, v11, -v17
	v_fmac_f32_e32 v95, v18, v14
	v_mul_f32_e32 v73, v29, v1
	v_mul_f32_e32 v29, v29, v0
	v_fma_f32 v11, v18, v15, -v19
	v_sub_f32_e32 v19, v90, v91
	v_mul_f32_e32 v27, v27, v6
	v_fmac_f32_e32 v73, v28, v0
	v_fma_f32 v0, v28, v1, -v29
	v_fma_f32 v1, v30, v5, -v31
	v_add_f32_e32 v15, v90, v91
	v_fma_f32 v5, v26, v7, -v27
	v_dual_add_f32 v27, v94, v95 :: v_dual_add_f32 v26, v87, v94
	v_sub_f32_e32 v28, v4, v11
	v_add_f32_e32 v30, v4, v11
	v_add_f32_e32 v29, v88, v4
	s_delay_alu instid0(VALU_DEP_4) | instskip(SKIP_1) | instid1(VALU_DEP_4)
	v_fma_f32 v87, -0.5, v27, v87
	v_mul_f32_e32 v93, v23, v13
	v_dual_sub_f32 v31, v94, v95 :: v_dual_fmac_f32 v88, -0.5, v30
	v_dual_mul_f32 v23, v23, v12 :: v_dual_mul_f32 v92, v21, v9
	s_delay_alu instid0(VALU_DEP_3)
	v_dual_fmac_f32 v93, v22, v12 :: v_dual_add_f32 v12, v83, v90
	v_fma_f32 v83, -0.5, v15, v83
	v_mul_f32_e32 v25, v25, v2
	v_mul_f32_e32 v21, v21, v8
	v_fmac_f32_e32 v92, v20, v8
	v_add_f32_e32 v8, v73, v89
	v_add_f32_e32 v10, v0, v1
	v_fma_f32 v2, v24, v3, -v25
	v_fma_f32 v3, v20, v9, -v21
	v_add_f32_e32 v9, v82, v0
	v_add_f32_e32 v21, v92, v93
	;; [unrolled: 1-line block ×3, first 2 shown]
	v_dual_add_f32 v18, v2, v5 :: v_dual_add_f32 v17, v84, v2
	v_sub_f32_e32 v14, v73, v89
	v_sub_f32_e32 v16, v2, v5
	v_fma_f32 v2, -0.5, v8, v81
	s_delay_alu instid0(VALU_DEP_4) | instskip(SKIP_2) | instid1(VALU_DEP_3)
	v_fmac_f32_e32 v84, -0.5, v18
	v_dual_add_f32 v20, v85, v92 :: v_dual_sub_f32 v25, v92, v93
	v_fma_f32 v8, -0.5, v21, v85
	v_dual_add_f32 v4, v12, v91 :: v_dual_fmamk_f32 v15, v19, 0x3f5db3d7, v84
	v_fmac_f32_e32 v84, 0xbf5db3d7, v19
	v_fmamk_f32 v19, v31, 0x3f5db3d7, v88
	v_fmac_f32_e32 v88, 0xbf5db3d7, v31
	v_fma_f32 v7, v22, v13, -v23
	v_sub_f32_e32 v13, v0, v1
	v_add_f32_e32 v23, v86, v3
	v_add_f32_e32 v1, v9, v1
	;; [unrolled: 1-line block ×4, first 2 shown]
	v_sub_f32_e32 v22, v3, v7
	v_fma_f32 v3, -0.5, v10, v82
	v_fmamk_f32 v12, v13, 0xbf5db3d7, v2
	v_fmac_f32_e32 v2, 0x3f5db3d7, v13
	v_fma_f32 v9, -0.5, v24, v86
	v_add_f32_e32 v5, v17, v5
	v_fmamk_f32 v13, v14, 0x3f5db3d7, v3
	v_fmac_f32_e32 v3, 0xbf5db3d7, v14
	v_fmamk_f32 v14, v16, 0xbf5db3d7, v83
	v_dual_fmac_f32 v83, 0x3f5db3d7, v16 :: v_dual_add_f32 v6, v20, v93
	v_add_f32_e32 v7, v23, v7
	v_add_f32_e32 v10, v26, v95
	v_dual_add_f32 v11, v29, v11 :: v_dual_fmamk_f32 v16, v22, 0xbf5db3d7, v8
	v_dual_fmac_f32 v8, 0x3f5db3d7, v22 :: v_dual_fmamk_f32 v17, v25, 0x3f5db3d7, v9
	v_fmac_f32_e32 v9, 0xbf5db3d7, v25
	v_fmamk_f32 v18, v28, 0xbf5db3d7, v87
	v_fmac_f32_e32 v87, 0x3f5db3d7, v28
	ds_store_2addr_b64 v157, v[0:1], v[12:13] offset1:12
	ds_store_b64 v157, v[2:3] offset:192
	ds_store_2addr_b64 v158, v[4:5], v[14:15] offset1:12
	ds_store_b64 v158, v[83:84] offset:192
	;; [unrolled: 2-line block ×4, first 2 shown]
	global_wb scope:SCOPE_SE
	s_wait_dscnt 0x0
	s_barrier_signal -1
	s_barrier_wait -1
	global_inv scope:SCOPE_SE
	ds_load_2addr_b64 v[4:7], v79 offset0:124 offset1:187
	ds_load_2addr_b64 v[8:11], v78 offset0:120 offset1:183
	;; [unrolled: 1-line block ×4, first 2 shown]
	ds_load_2addr_b64 v[20:23], v136 offset1:63
	ds_load_2addr_b64 v[0:3], v136 offset0:126 offset1:189
	global_wb scope:SCOPE_SE
	s_wait_dscnt 0x0
	s_barrier_signal -1
	s_barrier_wait -1
	global_inv scope:SCOPE_SE
	v_mul_f32_e32 v24, v45, v5
	v_dual_mul_f32 v25, v45, v4 :: v_dual_mul_f32 v26, v47, v9
	v_mul_f32_e32 v27, v47, v8
	v_mul_f32_e32 v45, v33, v15
	;; [unrolled: 1-line block ×4, first 2 shown]
	v_dual_mul_f32 v29, v41, v6 :: v_dual_mul_f32 v30, v43, v11
	v_mul_f32_e32 v31, v43, v10
	v_mul_f32_e32 v33, v33, v14
	;; [unrolled: 1-line block ×3, first 2 shown]
	v_fmac_f32_e32 v45, v32, v14
	v_fmac_f32_e32 v47, v34, v18
	v_mul_f32_e32 v41, v37, v13
	v_dual_mul_f32 v37, v37, v12 :: v_dual_fmac_f32 v28, v40, v6
	v_fma_f32 v6, v40, v7, -v29
	v_fmac_f32_e32 v30, v42, v10
	v_fma_f32 v7, v42, v11, -v31
	v_fma_f32 v10, v32, v15, -v33
	;; [unrolled: 1-line block ×3, first 2 shown]
	v_dual_add_f32 v35, v45, v47 :: v_dual_fmac_f32 v26, v46, v8
	v_fmac_f32_e32 v41, v36, v12
	v_fma_f32 v8, v36, v13, -v37
	v_add_f32_e32 v34, v2, v45
	v_dual_sub_f32 v36, v10, v11 :: v_dual_add_f32 v37, v3, v10
	v_add_f32_e32 v10, v10, v11
	v_fma_f32 v2, -0.5, v35, v2
	v_mul_f32_e32 v43, v39, v17
	v_mul_f32_e32 v39, v39, v16
	v_fmac_f32_e32 v24, v44, v4
	v_fma_f32 v4, v44, v5, -v25
	v_dual_fmac_f32 v3, -0.5, v10 :: v_dual_fmamk_f32 v10, v36, 0xbf5db3d7, v2
	v_fmac_f32_e32 v2, 0x3f5db3d7, v36
	v_fma_f32 v5, v46, v9, -v27
	v_fmac_f32_e32 v43, v38, v16
	v_fma_f32 v9, v38, v17, -v39
	v_add_f32_e32 v13, v24, v26
	v_add_f32_e32 v15, v21, v4
	v_sub_f32_e32 v25, v4, v5
	v_add_f32_e32 v4, v4, v5
	v_add_f32_e32 v17, v28, v30
	v_dual_sub_f32 v27, v6, v7 :: v_dual_add_f32 v18, v23, v6
	v_add_f32_e32 v6, v6, v7
	v_add_f32_e32 v29, v41, v43
	v_dual_sub_f32 v31, v8, v9 :: v_dual_add_f32 v32, v1, v8
	v_add_f32_e32 v8, v8, v9
	v_add_f32_e32 v12, v20, v24
	v_sub_f32_e32 v24, v24, v26
	v_fma_f32 v14, -0.5, v13, v20
	v_add_f32_e32 v13, v15, v5
	v_fma_f32 v15, -0.5, v4, v21
	v_add_f32_e32 v16, v22, v28
	v_sub_f32_e32 v28, v28, v30
	v_fma_f32 v22, -0.5, v17, v22
	v_fmac_f32_e32 v23, -0.5, v6
	v_add_f32_e32 v19, v0, v41
	v_sub_f32_e32 v33, v41, v43
	v_add_f32_e32 v17, v18, v7
	v_fma_f32 v6, -0.5, v29, v0
	v_fma_f32 v7, -0.5, v8, v1
	v_sub_f32_e32 v38, v45, v47
	v_add_f32_e32 v12, v12, v26
	v_fmamk_f32 v0, v25, 0xbf5db3d7, v14
	v_dual_fmamk_f32 v1, v24, 0x3f5db3d7, v15 :: v_dual_fmac_f32 v14, 0x3f5db3d7, v25
	v_dual_fmac_f32 v15, 0xbf5db3d7, v24 :: v_dual_add_f32 v16, v16, v30
	v_fmamk_f32 v20, v27, 0xbf5db3d7, v22
	v_dual_fmamk_f32 v21, v28, 0x3f5db3d7, v23 :: v_dual_fmac_f32 v22, 0x3f5db3d7, v27
	v_dual_fmac_f32 v23, 0xbf5db3d7, v28 :: v_dual_add_f32 v18, v19, v43
	v_dual_add_f32 v19, v32, v9 :: v_dual_fmamk_f32 v4, v31, 0xbf5db3d7, v6
	v_dual_fmamk_f32 v5, v33, 0x3f5db3d7, v7 :: v_dual_add_f32 v8, v34, v47
	v_add_f32_e32 v9, v37, v11
	v_fmac_f32_e32 v6, 0x3f5db3d7, v31
	v_fmac_f32_e32 v7, 0xbf5db3d7, v33
	v_fmamk_f32 v11, v38, 0x3f5db3d7, v3
	v_fmac_f32_e32 v3, 0xbf5db3d7, v38
	ds_store_2addr_b64 v163, v[12:13], v[0:1] offset1:36
	ds_store_b64 v163, v[14:15] offset:576
	ds_store_2addr_b64 v162, v[16:17], v[20:21] offset1:36
	ds_store_b64 v162, v[22:23] offset:576
	;; [unrolled: 2-line block ×4, first 2 shown]
	global_wb scope:SCOPE_SE
	s_wait_dscnt 0x0
	s_barrier_signal -1
	s_barrier_wait -1
	global_inv scope:SCOPE_SE
	ds_load_2addr_b64 v[12:15], v136 offset1:108
	ds_load_2addr_b64 v[20:23], v79 offset0:88 offset1:196
	ds_load_2addr_b64 v[16:19], v78 offset0:48 offset1:156
	ds_load_b64 v[0:1], v136 offset:5184
	s_and_saveexec_b32 s0, vcc_lo
	s_cbranch_execz .LBB0_7
; %bb.6:
	ds_load_2addr_b64 v[72:75], v78 offset0:111 offset1:219
	ds_load_2addr_b64 v[4:7], v136 offset0:63 offset1:171
	;; [unrolled: 1-line block ×3, first 2 shown]
	ds_load_b64 v[76:77], v136 offset:5688
	s_wait_dscnt 0x3
	v_dual_mov_b32 v2, v72 :: v_dual_mov_b32 v3, v73
.LBB0_7:
	s_wait_alu 0xfffe
	s_or_b32 exec_lo, exec_lo, s0
	s_wait_dscnt 0x2
	v_dual_mul_f32 v24, v69, v15 :: v_dual_mul_f32 v27, v71, v20
	v_dual_mul_f32 v25, v69, v14 :: v_dual_mul_f32 v26, v71, v21
	s_wait_dscnt 0x1
	v_mul_f32_e32 v28, v67, v17
	s_delay_alu instid0(VALU_DEP_3) | instskip(NEXT) | instid1(VALU_DEP_3)
	v_fmac_f32_e32 v24, v68, v14
	v_fma_f32 v14, v68, v15, -v25
	v_mul_f32_e32 v15, v65, v23
	v_dual_mul_f32 v25, v65, v22 :: v_dual_fmac_f32 v26, v70, v20
	v_fma_f32 v20, v70, v21, -v27
	s_delay_alu instid0(VALU_DEP_3) | instskip(NEXT) | instid1(VALU_DEP_3)
	v_dual_fmac_f32 v28, v66, v16 :: v_dual_fmac_f32 v15, v64, v22
	v_fma_f32 v21, v64, v23, -v25
	s_wait_dscnt 0x0
	v_dual_mul_f32 v25, v61, v19 :: v_dual_mul_f32 v22, v63, v1
	v_dual_mul_f32 v27, v61, v18 :: v_dual_mul_f32 v16, v67, v16
	s_delay_alu instid0(VALU_DEP_2) | instskip(SKIP_1) | instid1(VALU_DEP_4)
	v_fmac_f32_e32 v25, v60, v18
	v_mul_f32_e32 v23, v63, v0
	v_fmac_f32_e32 v22, v62, v0
	s_delay_alu instid0(VALU_DEP_2) | instskip(SKIP_2) | instid1(VALU_DEP_4)
	v_fma_f32 v0, v62, v1, -v23
	v_fma_f32 v1, v66, v17, -v16
	;; [unrolled: 1-line block ×3, first 2 shown]
	v_add_f32_e32 v17, v24, v22
	s_delay_alu instid0(VALU_DEP_4)
	v_dual_sub_f32 v19, v24, v22 :: v_dual_add_f32 v18, v14, v0
	v_sub_f32_e32 v0, v14, v0
	v_add_f32_e32 v14, v26, v25
	v_dual_add_f32 v22, v20, v16 :: v_dual_sub_f32 v23, v26, v25
	v_sub_f32_e32 v16, v20, v16
	v_dual_add_f32 v20, v15, v28 :: v_dual_sub_f32 v15, v28, v15
	s_delay_alu instid0(VALU_DEP_3) | instskip(SKIP_1) | instid1(VALU_DEP_3)
	v_dual_add_f32 v24, v21, v1 :: v_dual_add_f32 v25, v22, v18
	v_sub_f32_e32 v1, v1, v21
	v_dual_add_f32 v21, v14, v17 :: v_dual_sub_f32 v30, v15, v23
	s_delay_alu instid0(VALU_DEP_4)
	v_dual_sub_f32 v26, v14, v17 :: v_dual_sub_f32 v17, v17, v20
	v_dual_sub_f32 v27, v22, v18 :: v_dual_add_f32 v28, v15, v23
	v_dual_sub_f32 v18, v18, v24 :: v_dual_sub_f32 v15, v19, v15
	v_dual_sub_f32 v14, v20, v14 :: v_dual_add_f32 v29, v1, v16
	v_dual_sub_f32 v22, v24, v22 :: v_dual_sub_f32 v31, v1, v16
	v_dual_sub_f32 v32, v0, v1 :: v_dual_sub_f32 v23, v23, v19
	v_add_f32_e32 v20, v20, v21
	v_add_f32_e32 v21, v24, v25
	v_dual_mul_f32 v25, 0x3f08b237, v30 :: v_dual_sub_f32 v16, v16, v0
	v_dual_add_f32 v19, v28, v19 :: v_dual_add_f32 v24, v29, v0
	s_delay_alu instid0(VALU_DEP_3)
	v_add_f32_e32 v1, v13, v21
	v_mul_f32_e32 v13, 0x3f4a47b2, v18
	v_mul_f32_e32 v28, 0x3f08b237, v31
	v_dual_mul_f32 v29, 0xbf5ff5aa, v23 :: v_dual_mul_f32 v30, 0xbf5ff5aa, v16
	v_fma_f32 v23, 0xbf5ff5aa, v23, -v25
	v_fmamk_f32 v21, v21, 0xbf955555, v1
	v_mul_f32_e32 v18, 0x3d64c772, v22
	s_delay_alu instid0(VALU_DEP_3) | instskip(SKIP_2) | instid1(VALU_DEP_2)
	v_dual_add_f32 v0, v12, v20 :: v_dual_fmac_f32 v23, 0xbee1c552, v19
	v_fmamk_f32 v22, v22, 0x3d64c772, v13
	v_fma_f32 v13, 0xbf3bfb3b, v27, -v13
	v_add_f32_e32 v31, v22, v21
	v_mul_f32_e32 v12, 0x3f4a47b2, v17
	v_mul_f32_e32 v17, 0x3d64c772, v14
	v_fma_f32 v18, 0x3f3bfb3b, v27, -v18
	v_fmamk_f32 v27, v32, 0xbeae86e6, v28
	v_fmamk_f32 v20, v20, 0xbf955555, v0
	;; [unrolled: 1-line block ×3, first 2 shown]
	v_fma_f32 v17, 0x3f3bfb3b, v26, -v17
	v_fma_f32 v12, 0xbf3bfb3b, v26, -v12
	v_fmamk_f32 v26, v15, 0xbeae86e6, v25
	v_fma_f32 v25, 0xbf5ff5aa, v16, -v28
	v_fma_f32 v28, 0x3eae86e6, v15, -v29
	;; [unrolled: 1-line block ×3, first 2 shown]
	v_dual_add_f32 v32, v18, v21 :: v_dual_fmac_f32 v27, 0xbee1c552, v24
	s_delay_alu instid0(VALU_DEP_3) | instskip(SKIP_1) | instid1(VALU_DEP_4)
	v_dual_add_f32 v21, v13, v21 :: v_dual_fmac_f32 v28, 0xbee1c552, v19
	v_dual_fmac_f32 v25, 0xbee1c552, v24 :: v_dual_fmac_f32 v26, 0xbee1c552, v19
	v_fmac_f32_e32 v29, 0xbee1c552, v24
	v_add_f32_e32 v22, v17, v20
	s_delay_alu instid0(VALU_DEP_4) | instskip(SKIP_2) | instid1(VALU_DEP_2)
	v_sub_f32_e32 v15, v21, v28
	v_add_f32_e32 v30, v14, v20
	v_dual_add_f32 v20, v12, v20 :: v_dual_sub_f32 v13, v31, v26
	v_dual_add_f32 v21, v28, v21 :: v_dual_add_f32 v12, v27, v30
	v_add_f32_e32 v17, v23, v32
	v_sub_f32_e32 v19, v32, v23
	s_delay_alu instid0(VALU_DEP_4)
	v_dual_add_f32 v23, v26, v31 :: v_dual_add_f32 v14, v29, v20
	v_sub_f32_e32 v16, v22, v25
	v_add_f32_e32 v18, v25, v22
	v_sub_f32_e32 v20, v20, v29
	v_sub_f32_e32 v22, v30, v27
	ds_store_2addr_b64 v136, v[0:1], v[12:13] offset1:108
	ds_store_2addr_b64 v79, v[14:15], v[16:17] offset0:88 offset1:196
	ds_store_2addr_b64 v78, v[18:19], v[20:21] offset0:48 offset1:156
	ds_store_b64 v136, v[22:23] offset:5184
	s_and_saveexec_b32 s0, vcc_lo
	s_cbranch_execz .LBB0_9
; %bb.8:
	v_dual_mul_f32 v12, v49, v11 :: v_dual_mul_f32 v15, v59, v77
	v_dual_mul_f32 v0, v53, v7 :: v_dual_mul_f32 v13, v55, v9
	s_delay_alu instid0(VALU_DEP_2) | instskip(SKIP_1) | instid1(VALU_DEP_3)
	v_dual_mul_f32 v1, v51, v3 :: v_dual_fmac_f32 v12, v48, v10
	v_mul_f32_e32 v14, v57, v75
	v_dual_fmac_f32 v0, v52, v6 :: v_dual_fmac_f32 v15, v58, v76
	s_delay_alu instid0(VALU_DEP_3) | instskip(NEXT) | instid1(VALU_DEP_3)
	v_fmac_f32_e32 v1, v50, v2
	v_dual_fmac_f32 v13, v54, v8 :: v_dual_fmac_f32 v14, v56, v74
	s_delay_alu instid0(VALU_DEP_3) | instskip(NEXT) | instid1(VALU_DEP_3)
	v_dual_mul_f32 v2, v51, v2 :: v_dual_sub_f32 v19, v0, v15
	v_sub_f32_e32 v16, v1, v12
	s_delay_alu instid0(VALU_DEP_3) | instskip(SKIP_2) | instid1(VALU_DEP_3)
	v_dual_mul_f32 v18, v59, v76 :: v_dual_sub_f32 v17, v13, v14
	v_mul_f32_e32 v6, v53, v6
	v_dual_mul_f32 v8, v55, v8 :: v_dual_add_f32 v13, v14, v13
	v_dual_sub_f32 v21, v19, v16 :: v_dual_sub_f32 v20, v16, v17
	s_delay_alu instid0(VALU_DEP_4) | instskip(NEXT) | instid1(VALU_DEP_3)
	v_fma_f32 v18, v58, v77, -v18
	v_fma_f32 v8, v54, v9, -v8
	v_dual_mul_f32 v22, v57, v74 :: v_dual_add_f32 v9, v16, v17
	s_delay_alu instid0(VALU_DEP_4) | instskip(SKIP_2) | instid1(VALU_DEP_4)
	v_mul_f32_e32 v20, 0x3f08b237, v20
	v_fma_f32 v6, v52, v7, -v6
	v_mul_f32_e32 v7, v49, v10
	v_fma_f32 v10, v56, v75, -v22
	v_fma_f32 v2, v50, v3, -v2
	v_add_f32_e32 v9, v9, v19
	v_add_f32_e32 v15, v15, v0
	v_fma_f32 v7, v48, v11, -v7
	v_dual_add_f32 v11, v10, v8 :: v_dual_fmamk_f32 v22, v21, 0xbeae86e6, v20
	v_sub_f32_e32 v17, v17, v19
	s_delay_alu instid0(VALU_DEP_3) | instskip(SKIP_1) | instid1(VALU_DEP_4)
	v_add_f32_e32 v3, v2, v7
	v_add_f32_e32 v16, v18, v6
	v_fmac_f32_e32 v22, 0xbee1c552, v9
	v_dual_sub_f32 v2, v2, v7 :: v_dual_sub_f32 v7, v8, v10
	s_delay_alu instid0(VALU_DEP_4) | instskip(NEXT) | instid1(VALU_DEP_4)
	v_sub_f32_e32 v0, v3, v11
	v_add_f32_e32 v23, v11, v16
	s_delay_alu instid0(VALU_DEP_1) | instskip(SKIP_1) | instid1(VALU_DEP_4)
	v_add_f32_e32 v23, v3, v23
	v_dual_sub_f32 v24, v16, v3 :: v_dual_add_f32 v3, v1, v12
	v_mul_f32_e32 v12, 0x3d64c772, v0
	v_sub_f32_e32 v11, v11, v16
	s_delay_alu instid0(VALU_DEP_3) | instskip(SKIP_1) | instid1(VALU_DEP_2)
	v_dual_add_f32 v1, v5, v23 :: v_dual_mul_f32 v14, 0x3f4a47b2, v24
	v_add_f32_e32 v5, v13, v15
	v_fmamk_f32 v23, v23, 0xbf955555, v1
	s_delay_alu instid0(VALU_DEP_2) | instskip(SKIP_1) | instid1(VALU_DEP_1)
	v_dual_fmamk_f32 v24, v0, 0x3d64c772, v14 :: v_dual_add_f32 v5, v3, v5
	v_sub_f32_e32 v0, v15, v3
	v_mul_f32_e32 v8, 0x3f4a47b2, v0
	s_delay_alu instid0(VALU_DEP_3) | instskip(SKIP_2) | instid1(VALU_DEP_2)
	v_add_f32_e32 v0, v4, v5
	v_dual_sub_f32 v10, v3, v13 :: v_dual_sub_f32 v3, v2, v7
	v_dual_sub_f32 v4, v6, v18 :: v_dual_sub_f32 v13, v13, v15
	v_mul_f32_e32 v25, 0x3f08b237, v3
	s_delay_alu instid0(VALU_DEP_4) | instskip(NEXT) | instid1(VALU_DEP_4)
	v_fmamk_f32 v5, v5, 0xbf955555, v0
	v_fmamk_f32 v6, v10, 0x3d64c772, v8
	v_add_f32_e32 v18, v24, v23
	v_sub_f32_e32 v24, v4, v2
	v_dual_mul_f32 v10, 0x3d64c772, v10 :: v_dual_sub_f32 v15, v7, v4
	s_delay_alu instid0(VALU_DEP_4) | instskip(SKIP_4) | instid1(VALU_DEP_4)
	v_add_f32_e32 v19, v6, v5
	v_mul_f32_e32 v6, 0xbf5ff5aa, v17
	v_add_f32_e32 v2, v2, v7
	v_fma_f32 v7, 0xbf3bfb3b, v13, -v8
	v_dual_add_f32 v3, v22, v18 :: v_dual_fmamk_f32 v26, v24, 0xbeae86e6, v25
	v_fma_f32 v16, 0x3eae86e6, v21, -v6
	v_fma_f32 v6, 0xbf3bfb3b, v11, -v14
	s_delay_alu instid0(VALU_DEP_4) | instskip(NEXT) | instid1(VALU_DEP_3)
	v_add_f32_e32 v21, v7, v5
	v_fmac_f32_e32 v16, 0xbee1c552, v9
	s_delay_alu instid0(VALU_DEP_3) | instskip(SKIP_3) | instid1(VALU_DEP_3)
	v_add_f32_e32 v14, v6, v23
	v_mul_f32_e32 v8, 0xbf5ff5aa, v15
	v_fma_f32 v6, 0x3f3bfb3b, v13, -v10
	v_sub_f32_e32 v13, v18, v22
	v_fma_f32 v24, 0x3eae86e6, v24, -v8
	v_fma_f32 v8, 0xbf5ff5aa, v17, -v20
	s_delay_alu instid0(VALU_DEP_1) | instskip(SKIP_4) | instid1(VALU_DEP_3)
	v_fmac_f32_e32 v8, 0xbee1c552, v9
	v_add_f32_e32 v2, v2, v4
	v_fma_f32 v4, 0x3f3bfb3b, v11, -v12
	v_fma_f32 v11, 0xbf5ff5aa, v15, -v25
	v_dual_add_f32 v12, v6, v5 :: v_dual_add_nc_u32 v15, 0xc00, v136
	v_add_f32_e32 v10, v4, v23
	s_delay_alu instid0(VALU_DEP_1) | instskip(NEXT) | instid1(VALU_DEP_4)
	v_add_f32_e32 v9, v8, v10
	v_fmac_f32_e32 v11, 0xbee1c552, v2
	v_fmac_f32_e32 v26, 0xbee1c552, v2
	v_dual_fmac_f32 v24, 0xbee1c552, v2 :: v_dual_sub_f32 v7, v10, v8
	s_delay_alu instid0(VALU_DEP_3) | instskip(SKIP_1) | instid1(VALU_DEP_4)
	v_dual_add_f32 v5, v16, v14 :: v_dual_add_f32 v6, v11, v12
	v_sub_f32_e32 v8, v12, v11
	v_add_f32_e32 v12, v26, v19
	s_delay_alu instid0(VALU_DEP_4)
	v_dual_sub_f32 v11, v14, v16 :: v_dual_add_f32 v10, v24, v21
	v_add_nc_u32_e32 v14, 0x800, v136
	v_sub_f32_e32 v4, v21, v24
	v_sub_f32_e32 v2, v19, v26
	ds_store_2addr_b64 v136, v[0:1], v[12:13] offset0:63 offset1:171
	ds_store_2addr_b64 v14, v[10:11], v[8:9] offset0:23 offset1:131
	;; [unrolled: 1-line block ×3, first 2 shown]
	ds_store_b64 v136, v[2:3] offset:5688
.LBB0_9:
	s_wait_alu 0xfffe
	s_or_b32 exec_lo, exec_lo, s0
	global_wb scope:SCOPE_SE
	s_wait_dscnt 0x0
	s_barrier_signal -1
	s_barrier_wait -1
	global_inv scope:SCOPE_SE
	ds_load_2addr_b64 v[0:3], v136 offset1:63
	ds_load_2addr_b64 v[4:7], v136 offset0:126 offset1:189
	v_mad_co_u64_u32 v[24:25], null, s6, v98, 0
	v_mad_co_u64_u32 v[26:27], null, s4, v135, 0
	v_add_nc_u32_e32 v8, 0x800, v136
	v_add_nc_u32_e32 v12, 0xc00, v136
	;; [unrolled: 1-line block ×4, first 2 shown]
	s_mov_b32 s0, 0x6b015ac0
	s_mov_b32 s1, 0x3f55ac05
	s_wait_dscnt 0x1
	v_mul_f32_e32 v28, v116, v1
	v_mul_f32_e32 v21, v116, v0
	s_wait_dscnt 0x0
	v_mul_f32_e32 v33, v110, v5
	s_delay_alu instid0(VALU_DEP_3)
	v_dual_mul_f32 v35, v118, v7 :: v_dual_fmac_f32 v28, v115, v0
	v_mov_b32_e32 v0, v25
	v_fma_f32 v29, v115, v1, -v21
	v_mov_b32_e32 v1, v27
	v_fmac_f32_e32 v33, v109, v4
	v_fmac_f32_e32 v35, v117, v6
	s_delay_alu instid0(VALU_DEP_4) | instskip(NEXT) | instid1(VALU_DEP_4)
	v_cvt_f64_f32_e32 v[29:30], v29
	v_mad_co_u64_u32 v[31:32], null, s7, v98, v[0:1]
	v_mad_co_u64_u32 v[0:1], null, s5, v135, v[1:2]
	v_mul_f32_e32 v1, v106, v2
	ds_load_2addr_b64 v[8:11], v8 offset0:122 offset1:185
	ds_load_2addr_b64 v[12:15], v12 offset0:120 offset1:183
	;; [unrolled: 1-line block ×4, first 2 shown]
	v_dual_mul_f32 v32, v106, v3 :: v_dual_mov_b32 v25, v31
	v_fma_f32 v38, v105, v3, -v1
	v_mul_f32_e32 v34, v110, v4
	v_mul_f32_e32 v36, v118, v6
	s_delay_alu instid0(VALU_DEP_4)
	v_fmac_f32_e32 v32, v105, v2
	s_mul_u64 s[6:7], s[4:5], 0xbd0
	s_wait_dscnt 0x3
	v_mul_f32_e32 v31, v102, v9
	s_wait_dscnt 0x2
	v_mul_f32_e32 v41, v112, v13
	v_cvt_f64_f32_e32 v[27:28], v28
	v_dual_mul_f32 v37, v102, v8 :: v_dual_mul_f32 v44, v108, v14
	v_fmac_f32_e32 v31, v101, v8
	v_mul_f32_e32 v39, v100, v11
	s_wait_dscnt 0x0
	v_dual_mul_f32 v40, v100, v10 :: v_dual_mul_f32 v47, v114, v21
	v_fma_f32 v3, v101, v9, -v37
	v_cvt_f64_f32_e32 v[1:2], v31
	v_fma_f32 v34, v109, v5, -v34
	v_mul_f32_e32 v42, v112, v12
	v_fma_f32 v36, v117, v7, -v36
	v_cvt_f64_f32_e32 v[3:4], v3
	s_wait_alu 0xfffe
	v_mul_f64_e32 v[7:8], s[0:1], v[29:30]
	v_dual_mul_f32 v43, v108, v15 :: v_dual_mul_f32 v48, v114, v20
	v_dual_mul_f32 v45, v104, v17 :: v_dual_mul_f32 v50, v122, v23
	v_cvt_f64_f32_e32 v[30:31], v38
	v_dual_fmac_f32 v39, v99, v10 :: v_dual_mul_f32 v46, v104, v16
	v_mul_f32_e32 v51, v122, v22
	v_cvt_f64_f32_e32 v[9:10], v33
	v_fmac_f32_e32 v41, v111, v12
	v_fma_f32 v38, v111, v13, -v42
	v_fmac_f32_e32 v43, v107, v14
	v_fmac_f32_e32 v45, v103, v16
	v_cvt_f64_f32_e32 v[13:14], v39
	v_dual_mul_f32 v49, v120, v19 :: v_dual_fmac_f32 v50, v121, v22
	v_mul_f32_e32 v37, v120, v18
	v_fmac_f32_e32 v47, v113, v20
	v_fma_f32 v23, v121, v23, -v51
	s_delay_alu instid0(VALU_DEP_4) | instskip(SKIP_1) | instid1(VALU_DEP_3)
	v_fmac_f32_e32 v49, v119, v18
	v_cvt_f64_f32_e32 v[50:51], v50
	v_cvt_f64_f32_e32 v[52:53], v23
	v_mul_f64_e32 v[5:6], s[0:1], v[27:28]
	v_cvt_f64_f32_e32 v[28:29], v32
	v_fma_f32 v27, v99, v11, -v40
	v_cvt_f64_f32_e32 v[32:33], v34
	v_cvt_f64_f32_e32 v[11:12], v35
	;; [unrolled: 1-line block ×3, first 2 shown]
	v_fma_f32 v36, v107, v15, -v44
	v_cvt_f64_f32_e32 v[15:16], v27
	v_fma_f32 v27, v103, v17, -v46
	v_fma_f32 v44, v113, v21, -v48
	v_fma_f32 v48, v119, v19, -v37
	v_cvt_f64_f32_e32 v[17:18], v41
	v_cvt_f64_f32_e32 v[19:20], v38
	;; [unrolled: 1-line block ×10, first 2 shown]
	v_mul_f64_e32 v[1:2], s[0:1], v[1:2]
	v_mul_f64_e32 v[3:4], s[0:1], v[3:4]
	v_mov_b32_e32 v27, v0
	v_mul_f64_e32 v[9:10], s[0:1], v[9:10]
	v_cvt_f32_f64_e32 v5, v[5:6]
	v_cvt_f32_f64_e32 v6, v[7:8]
	v_lshlrev_b64_e32 v[7:8], 3, v[24:25]
	v_mul_f64_e32 v[23:24], s[0:1], v[28:29]
	v_mul_f64_e32 v[28:29], s[0:1], v[30:31]
	v_lshlrev_b64_e32 v[25:26], 3, v[26:27]
	v_mul_f64_e32 v[11:12], s[0:1], v[11:12]
	v_mul_f64_e32 v[30:31], s[0:1], v[34:35]
	v_add_co_u32 v0, vcc_lo, s2, v7
	s_wait_alu 0xfffd
	v_add_co_ci_u32_e32 v27, vcc_lo, s3, v8, vcc_lo
	v_mul_f64_e32 v[7:8], s[0:1], v[13:14]
	v_mul_f64_e32 v[13:14], s[0:1], v[15:16]
	v_add_co_u32 v15, vcc_lo, v0, v25
	s_wait_alu 0xfffd
	v_add_co_ci_u32_e32 v16, vcc_lo, v27, v26, vcc_lo
	v_mul_f64_e32 v[25:26], s[0:1], v[32:33]
	v_mul_f64_e32 v[17:18], s[0:1], v[17:18]
	;; [unrolled: 1-line block ×13, first 2 shown]
	v_cvt_f32_f64_e32 v0, v[1:2]
	v_cvt_f32_f64_e32 v1, v[3:4]
	v_add_co_u32 v2, vcc_lo, v15, s6
	s_movk_i32 s0, 0xf628
	s_mov_b32 s1, -1
	s_wait_alu 0xfffd
	v_add_co_ci_u32_e32 v3, vcc_lo, s7, v16, vcc_lo
	global_store_b64 v[15:16], v[5:6], off
	s_wait_alu 0xfffe
	s_mul_u64 s[0:1], s[4:5], s[0:1]
	v_cvt_f32_f64_e32 v4, v[23:24]
	v_cvt_f32_f64_e32 v5, v[28:29]
	s_wait_alu 0xfffe
	v_add_co_u32 v15, vcc_lo, v2, s0
	s_wait_alu 0xfffd
	v_add_co_ci_u32_e32 v16, vcc_lo, s1, v3, vcc_lo
	v_cvt_f32_f64_e32 v6, v[7:8]
	v_cvt_f32_f64_e32 v7, v[13:14]
	;; [unrolled: 1-line block ×3, first 2 shown]
	v_add_co_u32 v13, vcc_lo, v15, s6
	s_wait_alu 0xfffd
	v_add_co_ci_u32_e32 v14, vcc_lo, s7, v16, vcc_lo
	v_cvt_f32_f64_e32 v9, v[25:26]
	v_cvt_f32_f64_e32 v17, v[17:18]
	;; [unrolled: 1-line block ×5, first 2 shown]
	v_add_co_u32 v19, vcc_lo, v13, s0
	v_cvt_f32_f64_e32 v21, v[21:22]
	v_cvt_f32_f64_e32 v22, v[32:33]
	;; [unrolled: 1-line block ×4, first 2 shown]
	s_wait_alu 0xfffd
	v_add_co_ci_u32_e32 v20, vcc_lo, s1, v14, vcc_lo
	v_cvt_f32_f64_e32 v25, v[38:39]
	v_cvt_f32_f64_e32 v26, v[40:41]
	;; [unrolled: 1-line block ×6, first 2 shown]
	v_add_co_u32 v31, vcc_lo, v19, s6
	s_wait_alu 0xfffd
	v_add_co_ci_u32_e32 v32, vcc_lo, s7, v20, vcc_lo
	global_store_b64 v[2:3], v[0:1], off
	v_add_co_u32 v0, vcc_lo, v31, s0
	s_wait_alu 0xfffd
	v_add_co_ci_u32_e32 v1, vcc_lo, s1, v32, vcc_lo
	global_store_b64 v[15:16], v[4:5], off
	;; [unrolled: 4-line block ×7, first 2 shown]
	global_store_b64 v[4:5], v[23:24], off
	global_store_b64 v[6:7], v[25:26], off
	;; [unrolled: 1-line block ×4, first 2 shown]
.LBB0_10:
	s_nop 0
	s_sendmsg sendmsg(MSG_DEALLOC_VGPRS)
	s_endpgm
	.section	.rodata,"a",@progbits
	.p2align	6, 0x0
	.amdhsa_kernel bluestein_single_back_len756_dim1_sp_op_CI_CI
		.amdhsa_group_segment_fixed_size 6048
		.amdhsa_private_segment_fixed_size 0
		.amdhsa_kernarg_size 104
		.amdhsa_user_sgpr_count 2
		.amdhsa_user_sgpr_dispatch_ptr 0
		.amdhsa_user_sgpr_queue_ptr 0
		.amdhsa_user_sgpr_kernarg_segment_ptr 1
		.amdhsa_user_sgpr_dispatch_id 0
		.amdhsa_user_sgpr_private_segment_size 0
		.amdhsa_wavefront_size32 1
		.amdhsa_uses_dynamic_stack 0
		.amdhsa_enable_private_segment 0
		.amdhsa_system_sgpr_workgroup_id_x 1
		.amdhsa_system_sgpr_workgroup_id_y 0
		.amdhsa_system_sgpr_workgroup_id_z 0
		.amdhsa_system_sgpr_workgroup_info 0
		.amdhsa_system_vgpr_workitem_id 0
		.amdhsa_next_free_vgpr 193
		.amdhsa_next_free_sgpr 20
		.amdhsa_reserve_vcc 1
		.amdhsa_float_round_mode_32 0
		.amdhsa_float_round_mode_16_64 0
		.amdhsa_float_denorm_mode_32 3
		.amdhsa_float_denorm_mode_16_64 3
		.amdhsa_fp16_overflow 0
		.amdhsa_workgroup_processor_mode 1
		.amdhsa_memory_ordered 1
		.amdhsa_forward_progress 0
		.amdhsa_round_robin_scheduling 0
		.amdhsa_exception_fp_ieee_invalid_op 0
		.amdhsa_exception_fp_denorm_src 0
		.amdhsa_exception_fp_ieee_div_zero 0
		.amdhsa_exception_fp_ieee_overflow 0
		.amdhsa_exception_fp_ieee_underflow 0
		.amdhsa_exception_fp_ieee_inexact 0
		.amdhsa_exception_int_div_zero 0
	.end_amdhsa_kernel
	.text
.Lfunc_end0:
	.size	bluestein_single_back_len756_dim1_sp_op_CI_CI, .Lfunc_end0-bluestein_single_back_len756_dim1_sp_op_CI_CI
                                        ; -- End function
	.section	.AMDGPU.csdata,"",@progbits
; Kernel info:
; codeLenInByte = 12748
; NumSgprs: 22
; NumVgprs: 193
; ScratchSize: 0
; MemoryBound: 0
; FloatMode: 240
; IeeeMode: 1
; LDSByteSize: 6048 bytes/workgroup (compile time only)
; SGPRBlocks: 2
; VGPRBlocks: 24
; NumSGPRsForWavesPerEU: 22
; NumVGPRsForWavesPerEU: 193
; Occupancy: 7
; WaveLimiterHint : 1
; COMPUTE_PGM_RSRC2:SCRATCH_EN: 0
; COMPUTE_PGM_RSRC2:USER_SGPR: 2
; COMPUTE_PGM_RSRC2:TRAP_HANDLER: 0
; COMPUTE_PGM_RSRC2:TGID_X_EN: 1
; COMPUTE_PGM_RSRC2:TGID_Y_EN: 0
; COMPUTE_PGM_RSRC2:TGID_Z_EN: 0
; COMPUTE_PGM_RSRC2:TIDIG_COMP_CNT: 0
	.text
	.p2alignl 7, 3214868480
	.fill 96, 4, 3214868480
	.type	__hip_cuid_d46337ef7b4b0dcb,@object ; @__hip_cuid_d46337ef7b4b0dcb
	.section	.bss,"aw",@nobits
	.globl	__hip_cuid_d46337ef7b4b0dcb
__hip_cuid_d46337ef7b4b0dcb:
	.byte	0                               ; 0x0
	.size	__hip_cuid_d46337ef7b4b0dcb, 1

	.ident	"AMD clang version 19.0.0git (https://github.com/RadeonOpenCompute/llvm-project roc-6.4.0 25133 c7fe45cf4b819c5991fe208aaa96edf142730f1d)"
	.section	".note.GNU-stack","",@progbits
	.addrsig
	.addrsig_sym __hip_cuid_d46337ef7b4b0dcb
	.amdgpu_metadata
---
amdhsa.kernels:
  - .args:
      - .actual_access:  read_only
        .address_space:  global
        .offset:         0
        .size:           8
        .value_kind:     global_buffer
      - .actual_access:  read_only
        .address_space:  global
        .offset:         8
        .size:           8
        .value_kind:     global_buffer
      - .actual_access:  read_only
        .address_space:  global
        .offset:         16
        .size:           8
        .value_kind:     global_buffer
      - .actual_access:  read_only
        .address_space:  global
        .offset:         24
        .size:           8
        .value_kind:     global_buffer
      - .actual_access:  read_only
        .address_space:  global
        .offset:         32
        .size:           8
        .value_kind:     global_buffer
      - .offset:         40
        .size:           8
        .value_kind:     by_value
      - .address_space:  global
        .offset:         48
        .size:           8
        .value_kind:     global_buffer
      - .address_space:  global
        .offset:         56
        .size:           8
        .value_kind:     global_buffer
      - .address_space:  global
        .offset:         64
        .size:           8
        .value_kind:     global_buffer
      - .address_space:  global
        .offset:         72
        .size:           8
        .value_kind:     global_buffer
      - .offset:         80
        .size:           4
        .value_kind:     by_value
      - .address_space:  global
        .offset:         88
        .size:           8
        .value_kind:     global_buffer
      - .address_space:  global
        .offset:         96
        .size:           8
        .value_kind:     global_buffer
    .group_segment_fixed_size: 6048
    .kernarg_segment_align: 8
    .kernarg_segment_size: 104
    .language:       OpenCL C
    .language_version:
      - 2
      - 0
    .max_flat_workgroup_size: 63
    .name:           bluestein_single_back_len756_dim1_sp_op_CI_CI
    .private_segment_fixed_size: 0
    .sgpr_count:     22
    .sgpr_spill_count: 0
    .symbol:         bluestein_single_back_len756_dim1_sp_op_CI_CI.kd
    .uniform_work_group_size: 1
    .uses_dynamic_stack: false
    .vgpr_count:     193
    .vgpr_spill_count: 0
    .wavefront_size: 32
    .workgroup_processor_mode: 1
amdhsa.target:   amdgcn-amd-amdhsa--gfx1201
amdhsa.version:
  - 1
  - 2
...

	.end_amdgpu_metadata
